;; amdgpu-corpus repo=ROCm/rocFFT kind=compiled arch=gfx1030 opt=O3
	.text
	.amdgcn_target "amdgcn-amd-amdhsa--gfx1030"
	.amdhsa_code_object_version 6
	.protected	bluestein_single_back_len182_dim1_half_op_CI_CI ; -- Begin function bluestein_single_back_len182_dim1_half_op_CI_CI
	.globl	bluestein_single_back_len182_dim1_half_op_CI_CI
	.p2align	8
	.type	bluestein_single_back_len182_dim1_half_op_CI_CI,@function
bluestein_single_back_len182_dim1_half_op_CI_CI: ; @bluestein_single_back_len182_dim1_half_op_CI_CI
; %bb.0:
	s_load_dwordx4 s[12:15], s[4:5], 0x28
	v_mul_u32_u24_e32 v1, 0x13b2, v0
	v_mov_b32_e32 v9, 0
	s_mov_b32 s0, exec_lo
	v_lshrrev_b32_e32 v2, 16, v1
	v_lshl_add_u32 v8, s6, 2, v2
	s_waitcnt lgkmcnt(0)
	v_cmpx_gt_u64_e64 s[12:13], v[8:9]
	s_cbranch_execz .LBB0_15
; %bb.1:
	s_clause 0x1
	s_load_dwordx4 s[8:11], s[4:5], 0x18
	s_load_dwordx2 s[6:7], s[4:5], 0x0
	v_mul_lo_u16 v1, v2, 13
	s_load_dwordx2 s[12:13], s[4:5], 0x38
	v_sub_nc_u16 v15, v0, v1
	v_and_b32_e32 v50, 0xffff, v15
	v_or_b32_e32 v41, 0x70, v50
	v_lshlrev_b32_e32 v35, 2, v50
	s_waitcnt lgkmcnt(0)
	s_load_dwordx4 s[0:3], s[8:9], 0x0
	s_clause 0x3
	global_load_dword v53, v35, s[6:7]
	global_load_dword v52, v35, s[6:7] offset:56
	global_load_dword v51, v35, s[6:7] offset:112
	;; [unrolled: 1-line block ×3, first 2 shown]
	s_waitcnt lgkmcnt(0)
	v_mad_u64_u32 v[0:1], null, s2, v8, 0
	v_mad_u64_u32 v[3:4], null, s0, v50, 0
	s_mul_i32 s2, s1, 56
	s_mul_i32 s8, s0, 56
	v_mad_u64_u32 v[5:6], null, s3, v8, v[1:2]
	v_mad_u64_u32 v[6:7], null, s0, v41, 0
	s_mul_hi_u32 s3, s0, 56
	v_and_b32_e32 v2, 3, v2
	s_add_i32 s3, s3, s2
	v_mad_u64_u32 v[9:10], null, s1, v50, v[4:5]
	v_mov_b32_e32 v1, v5
	v_mov_b32_e32 v5, v7
	v_mul_u32_u24_e32 v36, 0xb6, v2
	v_lshlrev_b64 v[0:1], 2, v[0:1]
	v_mov_b32_e32 v4, v9
	v_mad_u64_u32 v[9:10], null, s1, v41, v[5:6]
	v_lshlrev_b32_e32 v37, 2, v36
	v_add_co_u32 v0, vcc_lo, s14, v0
	v_lshlrev_b64 v[3:4], 2, v[3:4]
	v_add_co_ci_u32_e32 v1, vcc_lo, s15, v1, vcc_lo
	v_mov_b32_e32 v7, v9
	v_add_nc_u32_e32 v40, v37, v35
	v_add_co_u32 v3, vcc_lo, v0, v3
	v_add_co_ci_u32_e32 v4, vcc_lo, v1, v4, vcc_lo
	v_lshlrev_b64 v[5:6], 2, v[6:7]
	v_add_co_u32 v9, vcc_lo, v3, s8
	v_add_co_ci_u32_e32 v10, vcc_lo, s3, v4, vcc_lo
	global_load_dword v7, v[3:4], off
	v_add_co_u32 v5, vcc_lo, v0, v5
	v_add_co_ci_u32_e32 v6, vcc_lo, v1, v6, vcc_lo
	v_add_co_u32 v11, vcc_lo, v9, s8
	v_add_co_ci_u32_e32 v12, vcc_lo, s3, v10, vcc_lo
	s_clause 0x2
	global_load_dword v16, v[5:6], off
	global_load_dword v17, v[9:10], off
	;; [unrolled: 1-line block ×3, first 2 shown]
	v_add_co_u32 v3, vcc_lo, v11, s8
	v_add_co_ci_u32_e32 v4, vcc_lo, s3, v12, vcc_lo
	global_load_dword v19, v[3:4], off
	global_load_dword v49, v35, s[6:7] offset:168
	v_add_co_u32 v5, vcc_lo, v3, s8
	v_add_co_ci_u32_e32 v6, vcc_lo, s3, v4, vcc_lo
	v_add_co_u32 v9, vcc_lo, v5, s8
	v_add_co_ci_u32_e32 v10, vcc_lo, s3, v6, vcc_lo
	global_load_dword v20, v[5:6], off
	global_load_dword v48, v35, s[6:7] offset:224
	global_load_dword v21, v[9:10], off
	global_load_dword v47, v35, s[6:7] offset:280
	v_add_co_u32 v11, vcc_lo, v9, s8
	v_add_co_ci_u32_e32 v12, vcc_lo, s3, v10, vcc_lo
	v_add_co_u32 v13, vcc_lo, v11, s8
	v_add_co_ci_u32_e32 v14, vcc_lo, s3, v12, vcc_lo
	global_load_dword v11, v[11:12], off
	s_clause 0x1
	global_load_dword v46, v35, s[6:7] offset:336
	global_load_dword v45, v35, s[6:7] offset:392
	global_load_dword v12, v[13:14], off
	global_load_dword v43, v35, s[6:7] offset:504
	v_mad_u64_u32 v[3:4], null, 0x70, s0, v[13:14]
	v_mad_u64_u32 v[4:5], null, 0x70, s1, v[4:5]
	v_add_co_u32 v5, vcc_lo, v3, s8
	global_load_dword v13, v[3:4], off
	v_add_co_ci_u32_e32 v6, vcc_lo, s3, v4, vcc_lo
	v_add_co_u32 v3, vcc_lo, v5, s8
	v_add_co_ci_u32_e32 v4, vcc_lo, s3, v6, vcc_lo
	v_add_co_u32 v9, vcc_lo, v3, s8
	v_add_co_ci_u32_e32 v10, vcc_lo, s3, v4, vcc_lo
	global_load_dword v5, v[5:6], off
	global_load_dword v42, v35, s[6:7] offset:560
	global_load_dword v3, v[3:4], off
	global_load_dword v4, v[9:10], off
	s_clause 0x1
	global_load_dword v39, v35, s[6:7] offset:616
	global_load_dword v38, v35, s[6:7] offset:672
	s_load_dwordx4 s[8:11], s[10:11], 0x0
	v_cmp_eq_u16_e32 vcc_lo, 0, v15
	s_waitcnt vmcnt(21)
	v_lshrrev_b32_e32 v2, 16, v7
	v_mul_f16_sdwa v6, v53, v7 dst_sel:DWORD dst_unused:UNUSED_PAD src0_sel:WORD_1 src1_sel:DWORD
	v_mul_f16_sdwa v14, v53, v2 dst_sel:DWORD dst_unused:UNUSED_PAD src0_sel:WORD_1 src1_sel:DWORD
	v_fma_f16 v2, v53, v2, -v6
	s_waitcnt vmcnt(20)
	v_lshrrev_b32_e32 v9, 16, v16
	v_mul_f16_sdwa v10, v44, v16 dst_sel:DWORD dst_unused:UNUSED_PAD src0_sel:WORD_1 src1_sel:DWORD
	s_waitcnt vmcnt(19)
	v_lshrrev_b32_e32 v6, 16, v17
	v_mul_f16_sdwa v22, v52, v17 dst_sel:DWORD dst_unused:UNUSED_PAD src0_sel:WORD_1 src1_sel:DWORD
	v_fmac_f16_e32 v14, v53, v7
	v_mul_f16_sdwa v23, v44, v9 dst_sel:DWORD dst_unused:UNUSED_PAD src0_sel:WORD_1 src1_sel:DWORD
	v_fma_f16 v9, v44, v9, -v10
	v_mul_f16_sdwa v7, v52, v6 dst_sel:DWORD dst_unused:UNUSED_PAD src0_sel:WORD_1 src1_sel:DWORD
	s_waitcnt vmcnt(18)
	v_lshrrev_b32_e32 v10, 16, v18
	v_fma_f16 v6, v52, v6, -v22
	v_mul_f16_sdwa v22, v51, v18 dst_sel:DWORD dst_unused:UNUSED_PAD src0_sel:WORD_1 src1_sel:DWORD
	v_fmac_f16_e32 v23, v44, v16
	v_pack_b32_f16 v2, v14, v2
	v_fmac_f16_e32 v7, v52, v17
	v_mul_f16_sdwa v14, v51, v10 dst_sel:DWORD dst_unused:UNUSED_PAD src0_sel:WORD_1 src1_sel:DWORD
	s_waitcnt vmcnt(17)
	v_lshrrev_b32_e32 v16, 16, v19
	s_waitcnt vmcnt(16)
	v_mul_f16_sdwa v17, v49, v19 dst_sel:DWORD dst_unused:UNUSED_PAD src0_sel:WORD_1 src1_sel:DWORD
	v_fma_f16 v10, v51, v10, -v22
	v_pack_b32_f16 v6, v7, v6
	v_fmac_f16_e32 v14, v51, v18
	v_mul_f16_sdwa v7, v49, v16 dst_sel:DWORD dst_unused:UNUSED_PAD src0_sel:WORD_1 src1_sel:DWORD
	v_fma_f16 v16, v49, v16, -v17
	s_waitcnt vmcnt(15)
	v_lshrrev_b32_e32 v17, 16, v20
	s_waitcnt vmcnt(14)
	v_mul_f16_sdwa v18, v48, v20 dst_sel:DWORD dst_unused:UNUSED_PAD src0_sel:WORD_1 src1_sel:DWORD
	ds_write2_b32 v40, v2, v6 offset1:14
	v_pack_b32_f16 v2, v14, v10
	v_fmac_f16_e32 v7, v49, v19
	v_mul_f16_sdwa v6, v48, v17 dst_sel:DWORD dst_unused:UNUSED_PAD src0_sel:WORD_1 src1_sel:DWORD
	s_waitcnt vmcnt(13)
	v_lshrrev_b32_e32 v10, 16, v21
	s_waitcnt vmcnt(12)
	v_mul_f16_sdwa v14, v47, v21 dst_sel:DWORD dst_unused:UNUSED_PAD src0_sel:WORD_1 src1_sel:DWORD
	v_fma_f16 v17, v48, v17, -v18
	v_pack_b32_f16 v7, v7, v16
	v_fmac_f16_e32 v6, v48, v20
	v_mul_f16_sdwa v16, v47, v10 dst_sel:DWORD dst_unused:UNUSED_PAD src0_sel:WORD_1 src1_sel:DWORD
	v_fma_f16 v10, v47, v10, -v14
	s_waitcnt vmcnt(11)
	v_lshrrev_b32_e32 v14, 16, v11
	s_waitcnt vmcnt(10)
	v_mul_f16_sdwa v18, v46, v11 dst_sel:DWORD dst_unused:UNUSED_PAD src0_sel:WORD_1 src1_sel:DWORD
	ds_write2_b32 v40, v2, v7 offset0:28 offset1:42
	v_pack_b32_f16 v2, v6, v17
	s_waitcnt vmcnt(8)
	v_lshrrev_b32_e32 v6, 16, v12
	v_fmac_f16_e32 v16, v47, v21
	v_mul_f16_sdwa v7, v46, v14 dst_sel:DWORD dst_unused:UNUSED_PAD src0_sel:WORD_1 src1_sel:DWORD
	v_fma_f16 v14, v46, v14, -v18
	v_mul_f16_sdwa v17, v45, v12 dst_sel:DWORD dst_unused:UNUSED_PAD src0_sel:WORD_1 src1_sel:DWORD
	v_mul_f16_sdwa v18, v45, v6 dst_sel:DWORD dst_unused:UNUSED_PAD src0_sel:WORD_1 src1_sel:DWORD
	v_pack_b32_f16 v10, v16, v10
	v_fmac_f16_e32 v7, v46, v11
	v_pack_b32_f16 v9, v23, v9
	v_fma_f16 v6, v45, v6, -v17
	v_fmac_f16_e32 v18, v45, v12
	ds_write2_b32 v40, v2, v10 offset0:56 offset1:70
	s_waitcnt vmcnt(6)
	v_lshrrev_b32_e32 v11, 16, v13
	v_mul_f16_sdwa v12, v43, v13 dst_sel:DWORD dst_unused:UNUSED_PAD src0_sel:WORD_1 src1_sel:DWORD
	v_pack_b32_f16 v2, v7, v14
	v_pack_b32_f16 v6, v18, v6
	v_mul_f16_sdwa v7, v43, v11 dst_sel:DWORD dst_unused:UNUSED_PAD src0_sel:WORD_1 src1_sel:DWORD
	v_fma_f16 v10, v43, v11, -v12
	s_waitcnt vmcnt(5)
	v_lshrrev_b32_e32 v11, 16, v5
	s_waitcnt vmcnt(4)
	v_mul_f16_sdwa v12, v42, v5 dst_sel:DWORD dst_unused:UNUSED_PAD src0_sel:WORD_1 src1_sel:DWORD
	v_fmac_f16_e32 v7, v43, v13
	s_waitcnt vmcnt(3)
	v_lshrrev_b32_e32 v13, 16, v3
	s_waitcnt vmcnt(2)
	v_lshrrev_b32_e32 v14, 16, v4
	v_mul_f16_sdwa v16, v42, v11 dst_sel:DWORD dst_unused:UNUSED_PAD src0_sel:WORD_1 src1_sel:DWORD
	v_fma_f16 v11, v42, v11, -v12
	s_waitcnt vmcnt(1)
	v_mul_f16_sdwa v12, v39, v3 dst_sel:DWORD dst_unused:UNUSED_PAD src0_sel:WORD_1 src1_sel:DWORD
	v_mul_f16_sdwa v17, v39, v13 dst_sel:DWORD dst_unused:UNUSED_PAD src0_sel:WORD_1 src1_sel:DWORD
	s_waitcnt vmcnt(0)
	v_mul_f16_sdwa v18, v38, v14 dst_sel:DWORD dst_unused:UNUSED_PAD src0_sel:WORD_1 src1_sel:DWORD
	v_mul_f16_sdwa v19, v38, v4 dst_sel:DWORD dst_unused:UNUSED_PAD src0_sel:WORD_1 src1_sel:DWORD
	v_fmac_f16_e32 v16, v42, v5
	v_fma_f16 v5, v39, v13, -v12
	v_fmac_f16_e32 v17, v39, v3
	v_fmac_f16_e32 v18, v38, v4
	v_fma_f16 v3, v38, v14, -v19
	v_pack_b32_f16 v4, v7, v10
	v_pack_b32_f16 v7, v16, v11
	;; [unrolled: 1-line block ×4, first 2 shown]
	ds_write2_b32 v40, v2, v6 offset0:84 offset1:98
	ds_write2_b32 v40, v9, v4 offset0:112 offset1:126
	;; [unrolled: 1-line block ×3, first 2 shown]
	ds_write_b32 v40, v3 offset:672
	s_and_saveexec_b32 s2, vcc_lo
	s_cbranch_execz .LBB0_3
; %bb.2:
	v_mad_u64_u32 v[2:3], null, s0, 52, v[0:1]
	v_mad_u64_u32 v[4:5], null, 0x6c, s0, v[0:1]
	;; [unrolled: 1-line block ×6, first 2 shown]
	v_mov_b32_e32 v3, v5
	v_mad_u64_u32 v[14:15], null, 0x14c, s0, v[0:1]
	v_mov_b32_e32 v5, v7
	v_mov_b32_e32 v7, v10
	v_mad_u64_u32 v[16:17], null, 0x6c, s1, v[3:4]
	v_mad_u64_u32 v[17:18], null, 0x184, s0, v[0:1]
	v_mov_b32_e32 v10, v12
	v_mov_b32_e32 v3, v13
	v_mad_u64_u32 v[12:13], null, 0xa4, s1, v[5:6]
	v_mov_b32_e32 v5, v15
	v_mad_u64_u32 v[19:20], null, 0xdc, s1, v[7:8]
	;; [unrolled: 2-line block ×3, first 2 shown]
	v_mad_u64_u32 v[23:24], null, 0x14c, s1, v[5:6]
	v_mad_u64_u32 v[24:25], null, 0x184, s1, v[7:8]
	;; [unrolled: 1-line block ×4, first 2 shown]
	v_mov_b32_e32 v15, v23
	v_mov_b32_e32 v5, v16
	v_mov_b32_e32 v18, v24
	v_mad_u64_u32 v[23:24], null, 0x1f4, s0, v[0:1]
	v_mov_b32_e32 v13, v22
	v_mov_b32_e32 v7, v12
	;; [unrolled: 1-line block ×5, first 2 shown]
	v_mad_u64_u32 v[19:20], null, 0x1bc, s1, v[13:14]
	s_clause 0x4
	global_load_dword v13, v[2:3], off
	global_load_dword v16, v[4:5], off
	;; [unrolled: 1-line block ×5, first 2 shown]
	v_mov_b32_e32 v2, v24
	v_mov_b32_e32 v3, v26
	v_mad_u64_u32 v[9:10], null, 0x29c, s0, v[0:1]
	s_clause 0x1
	global_load_dword v14, v[14:15], off
	global_load_dword v15, v[17:18], off
	v_mov_b32_e32 v22, v19
	v_mad_u64_u32 v[4:5], null, 0x1f4, s1, v[2:3]
	v_mad_u64_u32 v[5:6], null, 0x264, s0, v[0:1]
	;; [unrolled: 1-line block ×3, first 2 shown]
	s_clause 0x7
	global_load_dword v17, v27, s[6:7] offset:52
	global_load_dword v18, v27, s[6:7] offset:108
	;; [unrolled: 1-line block ×8, first 2 shown]
	v_mad_u64_u32 v[2:3], null, 0x22c, s1, v[3:4]
	v_mov_b32_e32 v3, v6
	v_mov_b32_e32 v24, v4
	v_mad_u64_u32 v[3:4], null, 0x264, s1, v[3:4]
	v_mov_b32_e32 v26, v2
	v_mov_b32_e32 v2, v10
	v_mad_u64_u32 v[10:11], null, 0x29c, s1, v[2:3]
	v_mad_u64_u32 v[1:2], null, 0x2d4, s1, v[1:2]
	s_clause 0x1
	global_load_dword v2, v27, s[6:7] offset:500
	global_load_dword v4, v27, s[6:7] offset:556
	global_load_dword v11, v[21:22], off
	v_mov_b32_e32 v6, v3
	s_clause 0x2
	global_load_dword v3, v[23:24], off
	global_load_dword v21, v[25:26], off
	;; [unrolled: 1-line block ×3, first 2 shown]
	global_load_dword v6, v27, s[6:7] offset:612
	global_load_dword v9, v[9:10], off
	global_load_dword v10, v27, s[6:7] offset:668
	global_load_dword v0, v[0:1], off
	global_load_dword v1, v27, s[6:7] offset:724
	s_waitcnt vmcnt(25)
	v_lshrrev_b32_e32 v22, 16, v13
	s_waitcnt vmcnt(24)
	v_lshrrev_b32_e32 v24, 16, v16
	;; [unrolled: 2-line block ×7, first 2 shown]
	s_waitcnt vmcnt(18)
	v_mul_f16_sdwa v23, v17, v13 dst_sel:DWORD dst_unused:UNUSED_PAD src0_sel:WORD_1 src1_sel:DWORD
	s_waitcnt vmcnt(17)
	v_mul_f16_sdwa v25, v18, v16 dst_sel:DWORD dst_unused:UNUSED_PAD src0_sel:WORD_1 src1_sel:DWORD
	s_waitcnt vmcnt(16)
	v_mul_f16_sdwa v27, v19, v7 dst_sel:DWORD dst_unused:UNUSED_PAD src0_sel:WORD_1 src1_sel:DWORD
	s_waitcnt vmcnt(15)
	v_mul_f16_sdwa v34, v28, v20 dst_sel:DWORD dst_unused:UNUSED_PAD src0_sel:WORD_1 src1_sel:DWORD
	s_waitcnt vmcnt(14)
	v_mul_f16_sdwa v55, v29, v12 dst_sel:DWORD dst_unused:UNUSED_PAD src0_sel:WORD_1 src1_sel:DWORD
	s_waitcnt vmcnt(13)
	v_mul_f16_sdwa v57, v30, v14 dst_sel:DWORD dst_unused:UNUSED_PAD src0_sel:WORD_1 src1_sel:DWORD
	s_waitcnt vmcnt(12)
	v_mul_f16_sdwa v59, v31, v15 dst_sel:DWORD dst_unused:UNUSED_PAD src0_sel:WORD_1 src1_sel:DWORD
	v_mul_f16_sdwa v72, v17, v22 dst_sel:DWORD dst_unused:UNUSED_PAD src0_sel:WORD_1 src1_sel:DWORD
	v_fma_f16 v22, v17, v22, -v23
	v_mul_f16_sdwa v23, v18, v24 dst_sel:DWORD dst_unused:UNUSED_PAD src0_sel:WORD_1 src1_sel:DWORD
	v_fma_f16 v24, v18, v24, -v25
	;; [unrolled: 2-line block ×7, first 2 shown]
	v_fmac_f16_e32 v72, v17, v13
	v_fmac_f16_e32 v23, v18, v16
	;; [unrolled: 1-line block ×4, first 2 shown]
	s_waitcnt vmcnt(7)
	v_lshrrev_b32_e32 v62, 16, v3
	v_mul_f16_sdwa v63, v2, v3 dst_sel:DWORD dst_unused:UNUSED_PAD src0_sel:WORD_1 src1_sel:DWORD
	s_waitcnt vmcnt(6)
	v_lshrrev_b32_e32 v64, 16, v21
	v_lshrrev_b32_e32 v60, 16, v11
	v_mul_f16_sdwa v61, v32, v11 dst_sel:DWORD dst_unused:UNUSED_PAD src0_sel:WORD_1 src1_sel:DWORD
	v_mul_f16_sdwa v65, v4, v21 dst_sel:DWORD dst_unused:UNUSED_PAD src0_sel:WORD_1 src1_sel:DWORD
	s_waitcnt vmcnt(5)
	v_lshrrev_b32_e32 v66, 16, v5
	s_waitcnt vmcnt(4)
	v_mul_f16_sdwa v67, v6, v5 dst_sel:DWORD dst_unused:UNUSED_PAD src0_sel:WORD_1 src1_sel:DWORD
	s_waitcnt vmcnt(3)
	v_lshrrev_b32_e32 v68, 16, v9
	s_waitcnt vmcnt(2)
	v_mul_f16_sdwa v69, v10, v9 dst_sel:DWORD dst_unused:UNUSED_PAD src0_sel:WORD_1 src1_sel:DWORD
	s_waitcnt vmcnt(1)
	v_lshrrev_b32_e32 v70, 16, v0
	v_mul_f16_sdwa v59, v32, v60 dst_sel:DWORD dst_unused:UNUSED_PAD src0_sel:WORD_1 src1_sel:DWORD
	v_fma_f16 v60, v32, v60, -v61
	v_mul_f16_sdwa v61, v2, v62 dst_sel:DWORD dst_unused:UNUSED_PAD src0_sel:WORD_1 src1_sel:DWORD
	v_fma_f16 v62, v2, v62, -v63
	v_mul_f16_sdwa v63, v4, v64 dst_sel:DWORD dst_unused:UNUSED_PAD src0_sel:WORD_1 src1_sel:DWORD
	s_waitcnt vmcnt(0)
	v_mul_f16_sdwa v71, v1, v0 dst_sel:DWORD dst_unused:UNUSED_PAD src0_sel:WORD_1 src1_sel:DWORD
	v_fma_f16 v64, v4, v64, -v65
	v_mul_f16_sdwa v65, v6, v66 dst_sel:DWORD dst_unused:UNUSED_PAD src0_sel:WORD_1 src1_sel:DWORD
	v_fma_f16 v66, v6, v66, -v67
	;; [unrolled: 2-line block ×3, first 2 shown]
	v_mul_f16_sdwa v69, v1, v70 dst_sel:DWORD dst_unused:UNUSED_PAD src0_sel:WORD_1 src1_sel:DWORD
	v_fmac_f16_e32 v34, v29, v12
	v_fmac_f16_e32 v55, v30, v14
	;; [unrolled: 1-line block ×6, first 2 shown]
	v_fma_f16 v70, v1, v70, -v71
	v_fmac_f16_e32 v65, v6, v5
	v_fmac_f16_e32 v67, v10, v9
	v_fmac_f16_e32 v69, v1, v0
	v_pack_b32_f16 v0, v72, v22
	v_pack_b32_f16 v1, v23, v24
	;; [unrolled: 1-line block ×13, first 2 shown]
	ds_write2_b32 v37, v0, v1 offset0:13 offset1:27
	ds_write2_b32 v37, v2, v3 offset0:41 offset1:55
	;; [unrolled: 1-line block ×6, first 2 shown]
	ds_write_b32 v37, v13 offset:724
.LBB0_3:
	s_or_b32 exec_lo, exec_lo, s2
	s_waitcnt lgkmcnt(0)
	s_barrier
	buffer_gl0_inv
	ds_read2_b32 v[25:26], v40 offset1:14
	ds_read2_b32 v[31:32], v40 offset0:28 offset1:42
	ds_read2_b32 v[27:28], v40 offset0:56 offset1:70
	;; [unrolled: 1-line block ×5, first 2 shown]
	ds_read_b32 v74, v40 offset:672
	s_load_dwordx2 s[0:1], s[4:5], 0x8
	v_add_co_u32 v21, s2, s6, v35
	v_add_co_ci_u32_e64 v22, null, s7, 0, s2
	v_mov_b32_e32 v2, 0
                                        ; implicit-def: $vgpr7
                                        ; implicit-def: $vgpr4
                                        ; implicit-def: $vgpr20
                                        ; implicit-def: $vgpr0
                                        ; implicit-def: $vgpr24
                                        ; implicit-def: $vgpr67
	s_and_saveexec_b32 s2, vcc_lo
	s_cbranch_execz .LBB0_5
; %bb.4:
	ds_read2_b32 v[2:3], v37 offset0:13 offset1:27
	ds_read2_b32 v[23:24], v37 offset0:41 offset1:55
	;; [unrolled: 1-line block ×6, first 2 shown]
	ds_read_b32 v67, v37 offset:724
.LBB0_5:
	s_or_b32 exec_lo, exec_lo, s2
	s_waitcnt lgkmcnt(0)
	v_pk_add_f16 v60, v3, v67 neg_lo:[0,1] neg_hi:[0,1]
	v_mov_b32_e32 v70, 0xba95
	v_mov_b32_e32 v72, 0xbbf1
	v_mov_b32_e32 v68, 0xbb7b
	v_pk_add_f16 v10, v25, v26
	v_mov_b32_e32 v69, 0xb94e
	v_pk_add_f16 v61, v67, v3
	v_mul_f16_sdwa v9, v60, v70 dst_sel:DWORD dst_unused:UNUSED_PAD src0_sel:WORD_1 src1_sel:DWORD
	v_mul_f16_sdwa v11, v60, v72 dst_sel:DWORD dst_unused:UNUSED_PAD src0_sel:WORD_1 src1_sel:DWORD
	;; [unrolled: 1-line block ×3, first 2 shown]
	v_pk_add_f16 v59, v23, v1 neg_lo:[0,1] neg_hi:[0,1]
	v_mul_f16_sdwa v16, v60, v69 dst_sel:DWORD dst_unused:UNUSED_PAD src0_sel:WORD_1 src1_sel:DWORD
	v_mov_b32_e32 v71, 0xb3a8
	v_mov_b32_e32 v77, 0x394e
	;; [unrolled: 1-line block ×3, first 2 shown]
	v_pk_add_f16 v10, v10, v31
	v_fma_f16 v13, v61, 0x388b, -v9
	v_fmac_f16_e32 v9, 0x388b, v61
	v_fma_f16 v14, v61, 0x2fb7, -v11
	v_fmac_f16_e32 v11, 0x2fb7, v61
	;; [unrolled: 2-line block ×3, first 2 shown]
	v_pk_add_f16 v54, v1, v23
	v_mul_f16_sdwa v63, v59, v68 dst_sel:DWORD dst_unused:UNUSED_PAD src0_sel:WORD_1 src1_sel:DWORD
	v_fma_f16 v64, v61, 0xb9fd, -v16
	v_fmac_f16_e32 v16, 0xb9fd, v61
	v_mul_f16_sdwa v65, v59, v71 dst_sel:DWORD dst_unused:UNUSED_PAD src0_sel:WORD_1 src1_sel:DWORD
	v_mul_f16_sdwa v79, v59, v77 dst_sel:DWORD dst_unused:UNUSED_PAD src0_sel:WORD_1 src1_sel:DWORD
	v_pk_add_f16 v58, v24, v0 neg_lo:[0,1] neg_hi:[0,1]
	v_mul_f16_sdwa v82, v59, v76 dst_sel:DWORD dst_unused:UNUSED_PAD src0_sel:WORD_1 src1_sel:DWORD
	v_mov_b32_e32 v75, 0x3b7b
	v_mov_b32_e32 v73, 0x3770
	v_pk_add_f16 v10, v10, v32
	v_fma_f16 v66, v54, 0xb5ac, -v63
	v_fmac_f16_e32 v63, 0xb5ac, v54
	v_fma_f16 v80, v54, 0xbbc4, -v65
	v_fmac_f16_e32 v65, 0xbbc4, v54
	;; [unrolled: 2-line block ×3, first 2 shown]
	v_pk_add_f16 v55, v0, v24
	v_mul_f16_sdwa v83, v58, v71 dst_sel:DWORD dst_unused:UNUSED_PAD src0_sel:WORD_1 src1_sel:DWORD
	v_fma_f16 v84, v54, 0x2fb7, -v82
	v_mul_f16_sdwa v85, v58, v75 dst_sel:DWORD dst_unused:UNUSED_PAD src0_sel:WORD_1 src1_sel:DWORD
	v_fmac_f16_e32 v82, 0x2fb7, v54
	v_mul_f16_sdwa v87, v58, v73 dst_sel:DWORD dst_unused:UNUSED_PAD src0_sel:WORD_1 src1_sel:DWORD
	v_pk_add_f16 v57, v19, v5 neg_lo:[0,1] neg_hi:[0,1]
	v_mul_f16_sdwa v89, v58, v70 dst_sel:DWORD dst_unused:UNUSED_PAD src0_sel:WORD_1 src1_sel:DWORD
	v_add_f16_e32 v13, v13, v2
	v_add_f16_e32 v9, v9, v2
	v_mov_b32_e32 v78, 0x33a8
	v_add_f16_e32 v14, v14, v2
	v_add_f16_e32 v11, v11, v2
	;; [unrolled: 1-line block ×5, first 2 shown]
	v_pk_add_f16 v10, v10, v27
	v_fma_f16 v86, v55, 0xbbc4, -v83
	v_fmac_f16_e32 v83, 0xbbc4, v55
	v_fma_f16 v88, v55, 0xb5ac, -v85
	v_fma_f16 v90, v55, 0x3b15, -v87
	v_pk_add_f16 v56, v5, v19
	v_mul_f16_sdwa v91, v57, v77 dst_sel:DWORD dst_unused:UNUSED_PAD src0_sel:WORD_1 src1_sel:DWORD
	v_fmac_f16_e32 v87, 0x3b15, v55
	v_fma_f16 v92, v55, 0x388b, -v89
	v_mul_f16_sdwa v93, v57, v73 dst_sel:DWORD dst_unused:UNUSED_PAD src0_sel:WORD_1 src1_sel:DWORD
	v_fmac_f16_e32 v89, 0x388b, v55
	v_mul_f16_sdwa v96, v57, v72 dst_sel:DWORD dst_unused:UNUSED_PAD src0_sel:WORD_1 src1_sel:DWORD
	v_add_f16_e32 v13, v66, v13
	v_add_f16_e32 v9, v63, v9
	;; [unrolled: 1-line block ×3, first 2 shown]
	v_mul_f16_sdwa v80, v57, v78 dst_sel:DWORD dst_unused:UNUSED_PAD src0_sel:WORD_1 src1_sel:DWORD
	v_add_f16_e32 v11, v65, v11
	v_pk_add_f16 v65, v20, v4 neg_lo:[0,1] neg_hi:[0,1]
	v_add_f16_e32 v63, v64, v2
	v_add_f16_e32 v15, v81, v15
	;; [unrolled: 1-line block ×4, first 2 shown]
	v_pk_add_f16 v10, v10, v28
	v_fmac_f16_e32 v85, 0xb5ac, v55
	v_fma_f16 v94, v56, 0xb9fd, -v91
	v_fma_f16 v95, v56, 0x3b15, -v93
	;; [unrolled: 1-line block ×3, first 2 shown]
	v_pk_add_f16 v66, v4, v20
	v_mul_f16_sdwa v81, v65, v76 dst_sel:DWORD dst_unused:UNUSED_PAD src0_sel:WORD_1 src1_sel:DWORD
	v_add_f16_e32 v63, v84, v63
	v_fma_f16 v84, v56, 0xbbc4, -v80
	v_fmac_f16_e32 v80, 0xbbc4, v56
	v_add_f16_e32 v13, v86, v13
	v_add_f16_e32 v9, v83, v9
	v_mul_f16_sdwa v83, v65, v78 dst_sel:DWORD dst_unused:UNUSED_PAD src0_sel:WORD_1 src1_sel:DWORD
	v_add_f16_e32 v14, v88, v14
	v_add_f16_e32 v15, v90, v15
	v_pk_add_f16 v64, v6, v7 neg_lo:[0,1] neg_hi:[0,1]
	v_add_f16_e32 v12, v87, v12
	v_mul_f16_sdwa v87, v65, v73 dst_sel:DWORD dst_unused:UNUSED_PAD src0_sel:WORD_1 src1_sel:DWORD
	v_add_f16_e32 v16, v89, v16
	v_mov_b32_e32 v79, 0x3a95
	v_pk_add_f16 v10, v10, v17
	v_fmac_f16_e32 v91, 0xb9fd, v56
	v_fmac_f16_e32 v93, 0x3b15, v56
	;; [unrolled: 1-line block ×3, first 2 shown]
	v_fma_f16 v82, v66, 0x2fb7, -v81
	v_mul_f16_sdwa v86, v65, v70 dst_sel:DWORD dst_unused:UNUSED_PAD src0_sel:WORD_1 src1_sel:DWORD
	v_add_f16_e32 v11, v85, v11
	v_fma_f16 v85, v66, 0xbbc4, -v83
	v_add_f16_e32 v90, v92, v63
	v_pk_add_f16 v63, v7, v6
	v_mul_f16_sdwa v89, v64, v73 dst_sel:DWORD dst_unused:UNUSED_PAD src0_sel:WORD_1 src1_sel:DWORD
	v_add_f16_e32 v13, v94, v13
	v_fma_f16 v92, v66, 0x3b15, -v87
	v_fmac_f16_e32 v87, 0x3b15, v66
	v_add_f16_e32 v14, v95, v14
	v_add_f16_e32 v15, v97, v15
	v_mul_f16_sdwa v95, v64, v79 dst_sel:DWORD dst_unused:UNUSED_PAD src0_sel:WORD_1 src1_sel:DWORD
	v_add_f16_e32 v16, v80, v16
	v_pk_add_f16 v10, v10, v18
	v_fmac_f16_e32 v81, 0x2fb7, v66
	v_fma_f16 v88, v66, 0x388b, -v86
	v_fmac_f16_e32 v86, 0x388b, v66
	v_fmac_f16_e32 v83, 0xbbc4, v66
	v_add_f16_e32 v9, v91, v9
	v_fma_f16 v91, v63, 0x3b15, -v89
	v_add_f16_e32 v11, v93, v11
	v_add_f16_e32 v12, v96, v12
	v_fma_f16 v80, v63, 0x388b, -v95
	v_add_f16_e32 v13, v82, v13
	v_add_f16_e32 v15, v85, v15
	;; [unrolled: 1-line block ×3, first 2 shown]
	v_pk_add_f16 v16, v10, v29
	v_mul_f16_sdwa v94, v64, v69 dst_sel:DWORD dst_unused:UNUSED_PAD src0_sel:WORD_1 src1_sel:DWORD
	v_add_f16_e32 v84, v84, v90
	v_mul_f16_sdwa v90, v64, v68 dst_sel:DWORD dst_unused:UNUSED_PAD src0_sel:WORD_1 src1_sel:DWORD
	v_fmac_f16_e32 v95, 0x388b, v63
	v_add_f16_e32 v9, v81, v9
	v_add_f16_e32 v81, v86, v11
	;; [unrolled: 1-line block ×5, first 2 shown]
	v_pk_add_f16 v15, v16, v30
	v_fmac_f16_e32 v89, 0x3b15, v63
	v_fma_f16 v93, v63, 0xb9fd, -v94
	v_fmac_f16_e32 v94, 0xb9fd, v63
	v_fma_f16 v82, v63, 0xb5ac, -v90
	v_add_f16_e32 v14, v88, v14
	v_add_f16_e32 v84, v92, v84
	v_pk_add_f16 v86, v26, v74 neg_lo:[0,1] neg_hi:[0,1]
	v_add_f16_e32 v16, v95, v83
	v_pk_add_f16 v83, v74, v26
	v_pk_add_f16 v26, v15, v33
	v_mov_b32_e32 v62, 0xb770
	v_fmac_f16_e32 v90, 0xb5ac, v63
	v_add_f16_e32 v10, v89, v9
	v_add_f16_e32 v12, v93, v14
	;; [unrolled: 1-line block ×4, first 2 shown]
	v_lshrrev_b32_e32 v84, 16, v83
	v_mul_f16_e32 v80, 0xba95, v86
	v_pk_add_f16 v81, v26, v34
	v_mul_f16_e32 v26, 0xbbf1, v86
	v_mul_f16_e32 v92, 0xbb7b, v86
	;; [unrolled: 1-line block ×3, first 2 shown]
	v_mul_f16_sdwa v82, v86, v62 dst_sel:DWORD dst_unused:UNUSED_PAD src0_sel:WORD_1 src1_sel:DWORD
	v_add_f16_e32 v15, v90, v85
	v_fmamk_f16 v87, v84, 0x388b, v80
	v_fma_f16 v88, v84, 0x388b, -v80
	v_fmamk_f16 v90, v84, 0x2fb7, v26
	v_fma_f16 v91, v84, 0x2fb7, -v26
	v_pk_add_f16 v80, v34, v31
	v_pk_add_f16 v26, v31, v34 neg_lo:[0,1] neg_hi:[0,1]
	v_pk_add_f16 v34, v33, v32
	v_pk_add_f16 v31, v32, v33 neg_lo:[0,1] neg_hi:[0,1]
	;; [unrolled: 2-line block ×4, first 2 shown]
	v_mul_f16_sdwa v29, v86, v68 dst_sel:DWORD dst_unused:UNUSED_PAD src0_sel:WORD_1 src1_sel:DWORD
	v_fmamk_f16 v33, v84, 0xb5ac, v92
	v_fma_f16 v92, v84, 0xb5ac, -v92
	v_fmamk_f16 v94, v84, 0xb9fd, v93
	v_fma_f16 v84, v84, 0xb9fd, -v93
	v_pk_mul_f16 v93, 0x3b15388b, v83
	v_pk_mul_f16 v99, 0xbbc4, v83 op_sel_hi:[0,1]
	v_fma_f16 v85, v83, 0x3b15, -v82
	v_fmac_f16_e32 v82, 0x3b15, v83
	v_mul_f16_sdwa v89, v86, v72 dst_sel:DWORD dst_unused:UNUSED_PAD src0_sel:WORD_1 src1_sel:DWORD
	v_fma_f16 v96, v83, 0xb5ac, -v29
	v_mul_f16_sdwa v97, v86, v69 dst_sel:DWORD dst_unused:UNUSED_PAD src0_sel:WORD_1 src1_sel:DWORD
	v_pk_fma_f16 v98, 0xba95b770, v86, v93 op_sel:[0,0,1] op_sel_hi:[1,1,0] neg_lo:[0,1,0] neg_hi:[0,1,0]
	v_pk_fma_f16 v93, 0xba95b770, v86, v93 op_sel:[0,0,1] op_sel_hi:[1,1,0]
	v_fmac_f16_e32 v29, 0xb5ac, v83
	v_pk_fma_f16 v101, 0xb3a8, v86, v99 op_sel:[0,0,1] op_sel_hi:[0,1,0] neg_lo:[0,1,0] neg_hi:[0,1,0]
	v_fma_f16 v95, v83, 0x2fb7, -v89
	v_fmac_f16_e32 v89, 0x2fb7, v83
	v_fma_f16 v100, v83, 0xb9fd, -v97
	v_fmac_f16_e32 v97, 0xb9fd, v83
	v_bfi_b32 v83, 0xffff, v93, v98
	v_pk_fma_f16 v86, 0xb3a8, v86, v99 op_sel:[0,0,1] op_sel_hi:[0,1,0]
	v_add_f16_e32 v99, v25, v82
	v_add_f16_sdwa v102, v25, v33 dst_sel:DWORD dst_unused:UNUSED_PAD src0_sel:WORD_1 src1_sel:DWORD
	v_add_f16_e32 v103, v25, v29
	v_lshrrev_b32_e32 v82, 16, v61
	v_mul_f16_e32 v104, 0xba95, v60
	v_add_f16_sdwa v33, v25, v98 dst_sel:DWORD dst_unused:UNUSED_PAD src0_sel:WORD_1 src1_sel:DWORD
	v_pk_add_f16 v29, v25, v101 op_sel:[1,0] op_sel_hi:[0,1]
	v_mul_f16_e32 v98, 0xbbf1, v60
	v_mul_f16_e32 v101, 0xbb7b, v60
	;; [unrolled: 1-line block ×4, first 2 shown]
	v_mul_f16_sdwa v62, v60, v62 dst_sel:DWORD dst_unused:UNUSED_PAD src0_sel:WORD_1 src1_sel:DWORD
	v_add_f16_e32 v85, v25, v85
	v_pk_add_f16 v83, v25, v83 op_sel:[1,0] op_sel_hi:[0,1]
	v_add_f16_sdwa v87, v25, v87 dst_sel:DWORD dst_unused:UNUSED_PAD src0_sel:WORD_1 src1_sel:DWORD
	v_pk_add_f16 v93, v25, v93 op_sel:[1,0] op_sel_hi:[0,1]
	v_add_f16_sdwa v88, v25, v88 dst_sel:DWORD dst_unused:UNUSED_PAD src0_sel:WORD_1 src1_sel:DWORD
	v_add_f16_e32 v95, v25, v95
	v_add_f16_sdwa v90, v25, v90 dst_sel:DWORD dst_unused:UNUSED_PAD src0_sel:WORD_1 src1_sel:DWORD
	v_add_f16_e32 v89, v25, v89
	;; [unrolled: 2-line block ×5, first 2 shown]
	v_add_f16_sdwa v84, v25, v84 dst_sel:DWORD dst_unused:UNUSED_PAD src0_sel:WORD_1 src1_sel:DWORD
	v_pk_add_f16 v25, v25, v86 op_sel:[1,0] op_sel_hi:[0,1]
	v_fmamk_f16 v86, v82, 0x388b, v104
	v_fma_f16 v104, v82, 0x388b, -v104
	v_fmamk_f16 v105, v82, 0x2fb7, v98
	v_fma_f16 v98, v82, 0x2fb7, -v98
	;; [unrolled: 2-line block ×4, first 2 shown]
	v_pk_mul_f16 v60, 0xb3a8b770, v60
	v_fmamk_f16 v110, v82, 0xbbc4, v108
	v_fma_f16 v82, v82, 0xbbc4, -v108
	v_fma_f16 v108, v61, 0x3b15, -v62
	v_mul_f16_sdwa v112, v59, v70 dst_sel:DWORD dst_unused:UNUSED_PAD src0_sel:WORD_1 src1_sel:DWORD
	v_fmac_f16_e32 v62, 0x3b15, v61
	v_pk_fma_f16 v111, 0x3b15bbc4, v61, v60 op_sel:[0,0,1] op_sel_hi:[1,1,0]
	v_pk_fma_f16 v60, 0x3b15bbc4, v61, v60 op_sel:[0,0,1] op_sel_hi:[1,1,0] neg_lo:[0,0,1] neg_hi:[0,0,1]
	v_add_f16_e32 v61, v108, v2
	v_lshrrev_b32_e32 v108, 16, v54
	v_mul_f16_e32 v113, 0xbb7b, v59
	v_fma_f16 v114, v54, 0x388b, -v112
	v_fmac_f16_e32 v112, 0x388b, v54
	v_add_f16_e32 v62, v62, v2
	v_add_f16_sdwa v104, v104, v2 dst_sel:DWORD dst_unused:UNUSED_PAD src0_sel:DWORD src1_sel:WORD_1
	v_fmamk_f16 v115, v108, 0xb5ac, v113
	v_fma_f16 v113, v108, 0xb5ac, -v113
	v_add_f16_e32 v61, v114, v61
	v_mul_f16_e32 v114, 0xb3a8, v59
	v_add_f16_sdwa v86, v86, v2 dst_sel:DWORD dst_unused:UNUSED_PAD src0_sel:DWORD src1_sel:WORD_1
	v_add_f16_e32 v62, v112, v62
	v_add_f16_e32 v104, v113, v104
	v_add_f16_sdwa v105, v105, v2 dst_sel:DWORD dst_unused:UNUSED_PAD src0_sel:DWORD src1_sel:WORD_1
	v_fmamk_f16 v112, v108, 0xbbc4, v114
	v_mul_f16_e32 v113, 0x394e, v59
	v_add_f16_e32 v86, v115, v86
	v_fma_f16 v114, v108, 0xbbc4, -v114
	v_add_f16_sdwa v98, v98, v2 dst_sel:DWORD dst_unused:UNUSED_PAD src0_sel:DWORD src1_sel:WORD_1
	v_mul_f16_e32 v115, 0x3bf1, v59
	v_fmamk_f16 v116, v108, 0xb9fd, v113
	v_fma_f16 v113, v108, 0xb9fd, -v113
	v_add_f16_sdwa v101, v101, v2 dst_sel:DWORD dst_unused:UNUSED_PAD src0_sel:DWORD src1_sel:WORD_1
	v_add_f16_e32 v105, v112, v105
	v_pk_mul_f16 v112, 0x3770ba95, v59
	v_add_f16_sdwa v107, v107, v2 dst_sel:DWORD dst_unused:UNUSED_PAD src0_sel:DWORD src1_sel:WORD_1
	v_add_f16_sdwa v109, v109, v2 dst_sel:DWORD dst_unused:UNUSED_PAD src0_sel:DWORD src1_sel:WORD_1
	v_fmamk_f16 v117, v108, 0x2fb7, v115
	v_add_f16_e32 v98, v114, v98
	v_add_f16_e32 v101, v113, v101
	v_fma_f16 v113, v108, 0x2fb7, -v115
	v_add_f16_sdwa v106, v106, v2 dst_sel:DWORD dst_unused:UNUSED_PAD src0_sel:DWORD src1_sel:WORD_1
	v_pk_add_f16 v60, v60, v2
	v_mul_f16_e32 v59, 0x3770, v59
	v_pk_fma_f16 v114, 0x388b3b15, v54, v112 op_sel:[0,0,1] op_sel_hi:[1,1,0] neg_lo:[0,0,1] neg_hi:[0,0,1]
	v_mul_f16_sdwa v115, v58, v72 dst_sel:DWORD dst_unused:UNUSED_PAD src0_sel:WORD_1 src1_sel:DWORD
	v_add_f16_e32 v107, v116, v107
	v_add_f16_e32 v109, v117, v109
	;; [unrolled: 1-line block ×3, first 2 shown]
	v_add_f16_sdwa v82, v82, v2 dst_sel:DWORD dst_unused:UNUSED_PAD src0_sel:DWORD src1_sel:WORD_1
	v_fma_f16 v113, v108, 0x3b15, -v59
	v_pk_add_f16 v60, v114, v60
	v_fma_f16 v114, v55, 0x2fb7, -v115
	v_lshrrev_b32_e32 v116, 16, v55
	v_mul_f16_e32 v117, 0xb3a8, v58
	v_fmac_f16_e32 v115, 0x2fb7, v55
	v_add_f16_e32 v82, v113, v82
	v_add_f16_e32 v61, v114, v61
	v_mul_f16_e32 v113, 0x3b7b, v58
	v_fmamk_f16 v114, v116, 0xbbc4, v117
	v_fma_f16 v117, v116, 0xbbc4, -v117
	v_add_f16_e32 v62, v115, v62
	v_mul_f16_e32 v115, 0x3770, v58
	v_fmamk_f16 v118, v116, 0xb5ac, v113
	v_add_f16_e32 v86, v114, v86
	v_add_f16_e32 v104, v117, v104
	v_fma_f16 v113, v116, 0xb5ac, -v113
	v_fmamk_f16 v114, v116, 0x3b15, v115
	v_mul_f16_e32 v117, 0xba95, v58
	v_fma_f16 v115, v116, 0x3b15, -v115
	v_add_f16_e32 v105, v118, v105
	v_add_f16_e32 v98, v113, v98
	;; [unrolled: 1-line block ×3, first 2 shown]
	v_pk_mul_f16 v113, 0xb94ebbf1, v58
	v_fmamk_f16 v114, v116, 0x388b, v117
	v_mul_f16_e32 v58, 0xb94e, v58
	v_add_f16_e32 v101, v115, v101
	v_fma_f16 v115, v116, 0x388b, -v117
	v_pk_fma_f16 v117, 0x2fb7b9fd, v55, v113 op_sel:[0,0,1] op_sel_hi:[1,1,0] neg_lo:[0,0,1] neg_hi:[0,0,1]
	v_mul_f16_sdwa v118, v57, v68 dst_sel:DWORD dst_unused:UNUSED_PAD src0_sel:WORD_1 src1_sel:DWORD
	v_add_f16_e32 v109, v114, v109
	v_fma_f16 v114, v116, 0xb9fd, -v58
	v_add_f16_e32 v106, v115, v106
	v_pk_add_f16 v60, v117, v60
	v_fma_f16 v115, v56, 0xb5ac, -v118
	v_lshrrev_b32_e32 v117, 16, v56
	v_mul_f16_e32 v119, 0x394e, v57
	v_add_f16_e32 v82, v114, v82
	v_fmac_f16_e32 v118, 0xb5ac, v56
	v_mul_f16_e32 v114, 0x3770, v57
	v_add_f16_e32 v61, v115, v61
	v_fmamk_f16 v115, v117, 0xb9fd, v119
	v_fma_f16 v119, v117, 0xb9fd, -v119
	v_add_f16_e32 v62, v118, v62
	v_mul_f16_e32 v118, 0xbbf1, v57
	v_fmamk_f16 v120, v117, 0x3b15, v114
	v_fma_f16 v114, v117, 0x3b15, -v114
	v_add_f16_e32 v86, v115, v86
	v_add_f16_e32 v104, v119, v104
	v_fmamk_f16 v115, v117, 0x2fb7, v118
	v_fma_f16 v118, v117, 0x2fb7, -v118
	v_mul_f16_e32 v119, 0x33a8, v57
	v_add_f16_e32 v98, v114, v98
	v_pk_mul_f16 v114, 0x3a95bb7b, v57
	v_add_f16_e32 v105, v120, v105
	v_add_f16_e32 v107, v115, v107
	;; [unrolled: 1-line block ×3, first 2 shown]
	v_fmamk_f16 v115, v117, 0xbbc4, v119
	v_fma_f16 v118, v117, 0xbbc4, -v119
	v_mul_f16_e32 v119, 0x3a95, v57
	v_pk_fma_f16 v57, 0xb5ac388b, v56, v114 op_sel:[0,0,1] op_sel_hi:[1,1,0] neg_lo:[0,0,1] neg_hi:[0,0,1]
	v_mul_f16_sdwa v120, v65, v69 dst_sel:DWORD dst_unused:UNUSED_PAD src0_sel:WORD_1 src1_sel:DWORD
	v_add_f16_e32 v109, v115, v109
	v_add_f16_e32 v106, v118, v106
	v_fma_f16 v115, v117, 0x388b, -v119
	v_pk_add_f16 v57, v57, v60
	v_fma_f16 v60, v66, 0xb9fd, -v120
	v_lshrrev_b32_e32 v118, 16, v66
	v_mul_f16_e32 v121, 0x3bf1, v65
	v_add_f16_e32 v115, v115, v82
	v_fmac_f16_e32 v120, 0xb9fd, v66
	v_add_f16_e32 v82, v60, v61
	v_mul_f16_e32 v60, 0xba95, v65
	v_fmamk_f16 v61, v118, 0x2fb7, v121
	v_fma_f16 v121, v118, 0x2fb7, -v121
	v_add_f16_e32 v62, v120, v62
	v_mul_f16_e32 v120, 0x33a8, v65
	v_fmamk_f16 v122, v118, 0x388b, v60
	v_add_f16_e32 v61, v61, v86
	v_add_f16_e32 v86, v121, v104
	v_fma_f16 v60, v118, 0x388b, -v60
	v_fmamk_f16 v104, v118, 0xbbc4, v120
	v_add_f16_e32 v105, v122, v105
	v_mul_f16_e32 v121, 0x3770, v65
	v_pk_mul_f16 v122, 0x388b3b15, v54
	v_add_f16_e32 v60, v60, v98
	v_add_f16_e32 v98, v104, v107
	v_fma_f16 v54, v118, 0xbbc4, -v120
	v_fmamk_f16 v104, v118, 0x3b15, v121
	v_add_f16_sdwa v107, v112, v122 dst_sel:DWORD dst_unused:UNUSED_PAD src0_sel:DWORD src1_sel:WORD_1
	v_add_f16_sdwa v120, v111, v2 dst_sel:DWORD dst_unused:UNUSED_PAD src0_sel:WORD_1 src1_sel:WORD_1
	v_pk_mul_f16 v55, 0x2fb7b9fd, v55
	v_add_f16_e32 v101, v54, v101
	v_add_f16_e32 v104, v104, v109
	v_pk_mul_f16 v109, 0xbb7bb94e, v65
	v_add_f16_e32 v54, v107, v120
	v_add_f16_sdwa v107, v113, v55 dst_sel:DWORD dst_unused:UNUSED_PAD src0_sel:DWORD src1_sel:WORD_1
	v_pk_mul_f16 v120, 0xb5ac388b, v56
	v_fma_f16 v56, v118, 0x3b15, -v121
	v_pk_fma_f16 v121, 0xb9fdb5ac, v66, v109 op_sel:[0,0,1] op_sel_hi:[1,1,0] neg_lo:[0,0,1] neg_hi:[0,0,1]
	v_pk_mul_f16 v66, 0xb9fdb5ac, v66
	v_add_f16_e32 v54, v107, v54
	v_add_f16_sdwa v107, v114, v120 dst_sel:DWORD dst_unused:UNUSED_PAD src0_sel:DWORD src1_sel:WORD_1
	v_mul_f16_e32 v65, 0xbb7b, v65
	v_pk_add_f16 v121, v121, v57
	v_add_f16_sdwa v57, v109, v66 dst_sel:DWORD dst_unused:UNUSED_PAD src0_sel:DWORD src1_sel:WORD_1
	v_pk_mul_f16 v123, 0x3bf1b3a8, v64
	v_add_f16_e32 v54, v107, v54
	v_pk_mul_f16 v107, 0xbbc42fb7, v63
	v_mul_f16_sdwa v124, v64, v71 dst_sel:DWORD dst_unused:UNUSED_PAD src0_sel:WORD_1 src1_sel:DWORD
	v_lshrrev_b32_e32 v125, 16, v63
	v_mul_f16_e32 v126, 0x3770, v64
	v_add_f16_e32 v106, v56, v106
	v_fma_f16 v56, v118, 0xb5ac, -v65
	v_add_f16_e32 v54, v57, v54
	v_add_f16_sdwa v57, v123, v107 dst_sel:DWORD dst_unused:UNUSED_PAD src0_sel:DWORD src1_sel:WORD_1
	v_fma_f16 v127, v63, 0xbbc4, -v124
	v_fmac_f16_e32 v124, 0xbbc4, v63
	v_fmamk_f16 v128, v125, 0x3b15, v126
	v_mul_f16_e32 v108, 0x3b15, v108
	v_add_f16_e32 v115, v56, v115
	v_add_f16_e32 v57, v57, v54
	;; [unrolled: 1-line block ×4, first 2 shown]
	v_pack_b32_f16 v59, v59, v111
	v_perm_b32 v61, v2, v108, 0x5040100
	v_pack_b32_f16 v62, v110, v122
	v_mul_f16_e32 v108, 0xb94e, v64
	v_perm_b32 v110, v112, v2, 0x7060302
	v_fma_f16 v111, v125, 0x3b15, -v126
	v_mul_f16_e32 v112, 0xb9fd, v116
	v_pk_add_f16 v61, v59, v61
	v_fmamk_f16 v59, v125, 0xb9fd, v108
	v_pk_add_f16 v62, v62, v110
	v_pack_b32_f16 v58, v58, v55
	v_bfi_b32 v110, 0xffff, v112, v113
	v_add_f16_e32 v55, v111, v86
	v_mul_f16_e32 v86, 0x388b, v117
	v_add_f16_e32 v59, v59, v105
	v_pk_add_f16 v61, v62, v61
	v_pk_add_f16 v58, v58, v110
	v_pack_b32_f16 v62, v119, v120
	v_mul_f16_e32 v105, 0x3a95, v64
	v_bfi_b32 v86, 0xffff, v86, v114
	v_fma_f16 v108, v125, 0xb9fd, -v108
	v_pk_add_f16 v61, v58, v61
	v_mul_f16_e32 v110, 0xb5ac, v118
	v_fmamk_f16 v111, v125, 0x388b, v105
	v_pk_add_f16 v86, v62, v86
	v_add_f16_e32 v58, v108, v60
	v_pack_b32_f16 v60, v65, v66
	v_bfi_b32 v65, 0xffff, v110, v109
	v_add_f16_e32 v62, v111, v98
	v_pk_add_f16 v66, v86, v61
	v_fma_f16 v61, v125, 0x388b, -v105
	v_mul_f16_e32 v86, 0x2fb7, v125
	v_mul_f16_e32 v98, 0x3bf1, v64
	;; [unrolled: 1-line block ×3, first 2 shown]
	v_pk_add_f16 v60, v60, v65
	v_add_f16_e32 v61, v61, v101
	v_bfi_b32 v65, 0xffff, v86, v123
	v_pack_b32_f16 v86, v98, v107
	v_fma_f16 v101, v125, 0xb5ac, -v64
	v_pk_add_f16 v66, v60, v66
	v_fmamk_f16 v60, v125, 0xb5ac, v64
	v_pk_fma_f16 v105, 0xbbc42fb7, v63, v123 op_sel:[0,0,1] op_sel_hi:[1,1,0] neg_lo:[0,0,1] neg_hi:[0,0,1]
	v_pk_add_f16 v65, v86, v65
	v_fma_f16 v86, v125, 0x2fb7, -v98
	v_add_f16_e32 v63, v101, v106
	v_mul_f16_sdwa v98, v26, v70 dst_sel:DWORD dst_unused:UNUSED_PAD src0_sel:WORD_1 src1_sel:DWORD
	v_pk_mul_f16 v101, 0x388bb5ac, v80
	v_add_f16_e32 v64, v60, v104
	v_pk_add_f16 v60, v105, v121
	v_pk_add_f16 v66, v65, v66
	v_add_f16_e32 v65, v86, v115
	v_fma_f16 v86, v80, 0x388b, -v98
	v_pk_fma_f16 v104, 0xbb7bba95, v26, v101 op_sel:[0,0,1] op_sel_hi:[1,1,0] neg_lo:[0,1,0] neg_hi:[0,1,0]
	v_pk_fma_f16 v101, 0xbb7bba95, v26, v101 op_sel:[0,0,1] op_sel_hi:[1,1,0]
	v_lshrrev_b32_e32 v105, 16, v80
	v_mul_f16_e32 v106, 0xbb7b, v26
	v_pk_add_f16 v74, v81, v74
	v_add_f16_e32 v85, v86, v85
	v_bfi_b32 v81, 0xffff, v101, v104
	v_fmac_f16_e32 v98, 0x388b, v80
	v_fmamk_f16 v86, v105, 0xb5ac, v106
	v_mul_f16_sdwa v77, v26, v77 dst_sel:DWORD dst_unused:UNUSED_PAD src0_sel:WORD_1 src1_sel:DWORD
	v_pk_add_f16 v93, v101, v93
	v_pk_add_f16 v81, v81, v83
	v_fma_f16 v83, v105, 0xb5ac, -v106
	v_add_f16_e32 v86, v86, v87
	v_mul_f16_e32 v87, 0xb3a8, v26
	v_add_f16_e32 v98, v98, v99
	v_mul_f16_sdwa v99, v26, v71 dst_sel:DWORD dst_unused:UNUSED_PAD src0_sel:WORD_1 src1_sel:DWORD
	v_add_f16_e32 v83, v83, v88
	v_fma_f16 v101, v80, 0xb9fd, -v77
	v_fmamk_f16 v88, v105, 0xbbc4, v87
	v_fma_f16 v87, v105, 0xbbc4, -v87
	v_fma_f16 v106, v80, 0xbbc4, -v99
	v_fmac_f16_e32 v99, 0xbbc4, v80
	v_mul_f16_sdwa v76, v26, v76 dst_sel:DWORD dst_unused:UNUSED_PAD src0_sel:WORD_1 src1_sel:DWORD
	v_add_f16_e32 v88, v88, v90
	v_mul_f16_e32 v90, 0x394e, v26
	v_add_f16_e32 v87, v87, v91
	v_add_f16_e32 v89, v99, v89
	;; [unrolled: 1-line block ×3, first 2 shown]
	v_mul_f16_e32 v99, 0x3bf1, v26
	v_fmamk_f16 v96, v105, 0xb9fd, v90
	v_fma_f16 v90, v105, 0xb9fd, -v90
	v_fma_f16 v101, v80, 0x2fb7, -v76
	v_fmac_f16_e32 v77, 0xb9fd, v80
	v_fmac_f16_e32 v76, 0x2fb7, v80
	v_add_f16_e32 v96, v96, v102
	v_add_f16_e32 v90, v90, v92
	v_fmamk_f16 v92, v105, 0x2fb7, v99
	v_pk_mul_f16 v102, 0x2fb7bbc4, v34
	v_add_f16_e32 v100, v101, v100
	v_mul_f16_sdwa v101, v31, v72 dst_sel:DWORD dst_unused:UNUSED_PAD src0_sel:WORD_1 src1_sel:DWORD
	v_add_f16_e32 v77, v77, v103
	v_add_f16_e32 v92, v92, v94
	v_fma_f16 v94, v105, 0x2fb7, -v99
	v_pk_fma_f16 v99, 0xb3a8bbf1, v31, v102 op_sel:[0,0,1] op_sel_hi:[1,1,0] neg_lo:[0,1,0] neg_hi:[0,1,0]
	v_pk_fma_f16 v102, 0xb3a8bbf1, v31, v102 op_sel:[0,0,1] op_sel_hi:[1,1,0]
	v_add_f16_e32 v76, v76, v97
	v_fma_f16 v97, v34, 0x2fb7, -v101
	v_lshrrev_b32_e32 v103, 16, v34
	v_mul_f16_e32 v105, 0xb3a8, v31
	v_add_f16_e32 v84, v94, v84
	v_bfi_b32 v94, 0xffff, v102, v99
	v_fmac_f16_e32 v101, 0x2fb7, v34
	v_add_f16_e32 v85, v97, v85
	v_fmamk_f16 v97, v103, 0xbbc4, v105
	v_mul_f16_sdwa v75, v31, v75 dst_sel:DWORD dst_unused:UNUSED_PAD src0_sel:WORD_1 src1_sel:DWORD
	v_pk_add_f16 v81, v94, v81
	v_fma_f16 v94, v103, 0xbbc4, -v105
	v_add_f16_e32 v95, v106, v95
	v_add_f16_e32 v98, v101, v98
	;; [unrolled: 1-line block ×3, first 2 shown]
	v_mul_f16_e32 v97, 0x3b7b, v31
	v_fma_f16 v101, v34, 0xb5ac, -v75
	v_add_f16_e32 v83, v94, v83
	v_mul_f16_sdwa v94, v31, v73 dst_sel:DWORD dst_unused:UNUSED_PAD src0_sel:WORD_1 src1_sel:DWORD
	v_pk_add_f16 v93, v102, v93
	v_fmamk_f16 v102, v103, 0xb5ac, v97
	v_add_f16_e32 v95, v101, v95
	v_fmac_f16_e32 v75, 0xb5ac, v34
	v_fma_f16 v101, v34, 0x3b15, -v94
	v_fma_f16 v97, v103, 0xb5ac, -v97
	v_add_f16_e32 v88, v102, v88
	v_mul_f16_e32 v102, 0x3770, v31
	v_add_f16_e32 v75, v75, v89
	v_add_f16_e32 v89, v101, v91
	v_mul_f16_sdwa v91, v31, v70 dst_sel:DWORD dst_unused:UNUSED_PAD src0_sel:WORD_1 src1_sel:DWORD
	v_add_f16_e32 v87, v97, v87
	v_fmamk_f16 v97, v103, 0x3b15, v102
	v_fmac_f16_e32 v94, 0x3b15, v34
	v_fma_f16 v101, v103, 0x3b15, -v102
	v_mul_f16_e32 v102, 0xba95, v31
	v_fma_f16 v105, v34, 0x388b, -v91
	v_add_f16_e32 v96, v97, v96
	v_add_f16_e32 v77, v94, v77
	;; [unrolled: 1-line block ×3, first 2 shown]
	v_fmamk_f16 v94, v103, 0x388b, v102
	v_add_f16_e32 v97, v105, v100
	v_fmac_f16_e32 v91, 0x388b, v34
	v_mul_f16_sdwa v100, v27, v68 dst_sel:DWORD dst_unused:UNUSED_PAD src0_sel:WORD_1 src1_sel:DWORD
	v_pk_mul_f16 v101, 0xb5acb9fd, v32
	v_add_f16_e32 v92, v94, v92
	v_fma_f16 v94, v103, 0x388b, -v102
	v_add_f16_e32 v76, v91, v76
	v_fma_f16 v91, v32, 0xb5ac, -v100
	v_pk_fma_f16 v102, 0x394ebb7b, v27, v101 op_sel:[0,0,1] op_sel_hi:[1,1,0] neg_lo:[0,1,0] neg_hi:[0,1,0]
	v_pk_fma_f16 v101, 0x394ebb7b, v27, v101 op_sel:[0,0,1] op_sel_hi:[1,1,0]
	v_lshrrev_b32_e32 v103, 16, v32
	v_mul_f16_e32 v105, 0x394e, v27
	v_add_f16_e32 v84, v94, v84
	v_add_f16_e32 v85, v91, v85
	v_bfi_b32 v94, 0xffff, v101, v102
	v_mul_f16_sdwa v72, v27, v72 dst_sel:DWORD dst_unused:UNUSED_PAD src0_sel:WORD_1 src1_sel:DWORD
	v_fmamk_f16 v91, v103, 0xb9fd, v105
	v_fmac_f16_e32 v100, 0xb5ac, v32
	v_pk_add_f16 v93, v101, v93
	v_pk_add_f16 v81, v94, v81
	v_fma_f16 v94, v103, 0xb9fd, -v105
	v_add_f16_e32 v86, v91, v86
	v_mul_f16_e32 v91, 0x3770, v27
	v_fma_f16 v101, v32, 0x2fb7, -v72
	v_add_f16_e32 v98, v100, v98
	v_mul_f16_sdwa v100, v27, v73 dst_sel:DWORD dst_unused:UNUSED_PAD src0_sel:WORD_1 src1_sel:DWORD
	v_add_f16_e32 v83, v94, v83
	v_fmamk_f16 v94, v103, 0x3b15, v91
	v_fma_f16 v91, v103, 0x3b15, -v91
	v_add_f16_e32 v89, v101, v89
	v_fmac_f16_e32 v72, 0x2fb7, v32
	v_mul_f16_e32 v101, 0x33a8, v27
	v_fma_f16 v105, v32, 0x3b15, -v100
	v_fmac_f16_e32 v100, 0x3b15, v32
	v_add_f16_e32 v88, v94, v88
	v_mul_f16_e32 v94, 0xbbf1, v27
	v_add_f16_e32 v87, v91, v87
	v_mul_f16_sdwa v91, v27, v78 dst_sel:DWORD dst_unused:UNUSED_PAD src0_sel:WORD_1 src1_sel:DWORD
	v_add_f16_e32 v72, v72, v77
	v_fmamk_f16 v77, v103, 0xbbc4, v101
	v_add_f16_e32 v95, v105, v95
	v_add_f16_e32 v75, v100, v75
	v_fmamk_f16 v100, v103, 0x2fb7, v94
	v_fma_f16 v94, v103, 0x2fb7, -v94
	v_fma_f16 v105, v32, 0xbbc4, -v91
	v_add_f16_e32 v77, v77, v92
	v_mul_f16_sdwa v92, v28, v69 dst_sel:DWORD dst_unused:UNUSED_PAD src0_sel:WORD_1 src1_sel:DWORD
	v_add_f16_e32 v96, v100, v96
	v_add_f16_e32 v90, v94, v90
	;; [unrolled: 1-line block ×3, first 2 shown]
	v_fma_f16 v100, v103, 0xbbc4, -v101
	v_fma_f16 v101, v30, 0xb9fd, -v92
	v_fmac_f16_e32 v92, 0xb9fd, v30
	v_lshrrev_b32_e32 v103, 16, v30
	v_mul_f16_e32 v105, 0x3bf1, v28
	v_mul_f16_sdwa v70, v28, v70 dst_sel:DWORD dst_unused:UNUSED_PAD src0_sel:WORD_1 src1_sel:DWORD
	v_add_f16_e32 v85, v101, v85
	v_add_f16_e32 v92, v92, v98
	v_mul_f16_sdwa v78, v28, v78 dst_sel:DWORD dst_unused:UNUSED_PAD src0_sel:WORD_1 src1_sel:DWORD
	v_fmamk_f16 v98, v103, 0x2fb7, v105
	v_fma_f16 v101, v103, 0x2fb7, -v105
	v_add_f16_e32 v84, v100, v84
	v_mul_f16_e32 v100, 0xba95, v28
	v_fmac_f16_e32 v91, 0xbbc4, v32
	v_add_f16_e32 v86, v98, v86
	v_fma_f16 v98, v30, 0x388b, -v70
	v_add_f16_e32 v83, v101, v83
	v_fmac_f16_e32 v70, 0x388b, v30
	v_fma_f16 v101, v30, 0xbbc4, -v78
	v_pk_mul_f16 v97, 0xb9fd2fb7, v30
	v_add_f16_e32 v95, v98, v95
	v_mul_f16_e32 v98, 0x33a8, v28
	v_fmamk_f16 v105, v103, 0x388b, v100
	v_add_f16_e32 v70, v70, v75
	v_add_f16_e32 v75, v101, v89
	v_mul_f16_sdwa v73, v28, v73 dst_sel:DWORD dst_unused:UNUSED_PAD src0_sel:WORD_1 src1_sel:DWORD
	v_mul_f16_e32 v89, 0x3770, v28
	v_fmamk_f16 v101, v103, 0xbbc4, v98
	v_fmac_f16_e32 v78, 0xbbc4, v30
	v_fma_f16 v98, v103, 0xbbc4, -v98
	v_add_f16_e32 v33, v104, v33
	v_add_f16_e32 v76, v91, v76
	v_pk_fma_f16 v91, 0x3bf1b94e, v28, v97 op_sel:[0,0,1] op_sel_hi:[1,1,0] neg_lo:[0,1,0] neg_hi:[0,1,0]
	v_pk_fma_f16 v97, 0x3bf1b94e, v28, v97 op_sel:[0,0,1] op_sel_hi:[1,1,0]
	v_add_f16_e32 v88, v105, v88
	v_fma_f16 v105, v30, 0x3b15, -v73
	v_add_f16_e32 v72, v78, v72
	v_add_f16_e32 v78, v98, v90
	v_pk_add_f16 v98, v17, v18 neg_lo:[0,1] neg_hi:[0,1]
	v_fmac_f16_e32 v73, 0x3b15, v30
	v_pk_add_f16 v17, v18, v17
	v_fma_f16 v18, v103, 0x3b15, -v89
	v_add_f16_e32 v33, v99, v33
	v_bfi_b32 v106, 0xffff, v97, v91
	v_mul_f16_sdwa v71, v98, v71 dst_sel:DWORD dst_unused:UNUSED_PAD src0_sel:WORD_1 src1_sel:DWORD
	v_add_f16_e32 v73, v73, v76
	v_pk_mul_f16 v76, 0xbbc43b15, v17
	v_add_f16_e32 v84, v18, v84
	v_add_f16_e32 v18, v102, v33
	v_pk_add_f16 v81, v106, v81
	v_fmamk_f16 v106, v103, 0x3b15, v89
	v_add_f16_e32 v90, v105, v94
	v_fma_f16 v94, v103, 0x388b, -v100
	v_fma_f16 v33, v17, 0xbbc4, -v71
	v_pk_fma_f16 v89, 0x3770b3a8, v98, v76 op_sel:[0,0,1] op_sel_hi:[1,1,0] neg_lo:[0,1,0] neg_hi:[0,1,0]
	v_pk_fma_f16 v99, 0x3770b3a8, v98, v76 op_sel:[0,0,1] op_sel_hi:[1,1,0]
	v_add_f16_e32 v18, v91, v18
	v_lshrrev_b32_e32 v91, 16, v17
	v_mul_f16_e32 v100, 0x3770, v98
	v_fmac_f16_e32 v71, 0xbbc4, v17
	v_add_f16_e32 v33, v33, v85
	v_bfi_b32 v85, 0xffff, v99, v89
	v_add_f16_e32 v89, v89, v18
	v_fmamk_f16 v18, v91, 0x3b15, v100
	v_mul_f16_sdwa v69, v98, v69 dst_sel:DWORD dst_unused:UNUSED_PAD src0_sel:WORD_1 src1_sel:DWORD
	v_add_f16_e32 v71, v71, v92
	v_fma_f16 v92, v91, 0x3b15, -v100
	v_pk_add_f16 v81, v85, v81
	v_mul_f16_e32 v85, 0xb9fd, v91
	v_add_f16_e32 v86, v18, v86
	v_mul_f16_sdwa v18, v98, v79 dst_sel:DWORD dst_unused:UNUSED_PAD src0_sel:WORD_1 src1_sel:DWORD
	v_fma_f16 v79, v17, 0xb9fd, -v69
	v_mul_f16_e32 v99, 0x3a95, v98
	v_add_f16_e32 v83, v92, v83
	v_fmamk_f16 v92, v98, 0xb94e, v85
	v_fmac_f16_e32 v69, 0xb9fd, v17
	v_add_f16_e32 v79, v79, v95
	v_fma_f16 v95, v91, 0x388b, -v99
	v_fma_f16 v100, v17, 0x388b, -v18
	v_add_f16_e32 v88, v92, v88
	v_fmac_f16_e32 v18, 0x388b, v17
	v_mul_f16_e32 v92, 0xbb7b, v98
	v_add_f16_e32 v95, v95, v78
	v_pk_mul_f16 v78, 0x3b15, v80 op_sel_hi:[0,1]
	v_add_f16_e32 v96, v101, v96
	v_add_f16_e32 v69, v69, v70
	v_fmamk_f16 v70, v91, 0x388b, v99
	v_mul_f16_sdwa v68, v98, v68 dst_sel:DWORD dst_unused:UNUSED_PAD src0_sel:WORD_1 src1_sel:DWORD
	v_add_f16_e32 v72, v18, v72
	v_fmamk_f16 v18, v91, 0xb5ac, v92
	v_fma_f16 v80, v91, 0xb5ac, -v92
	v_pk_fma_f16 v91, 0x3770, v26, v78 op_sel:[0,0,1] op_sel_hi:[0,1,0] neg_lo:[0,1,0] neg_hi:[0,1,0]
	v_pk_fma_f16 v26, 0x3770, v26, v78 op_sel:[0,0,1] op_sel_hi:[0,1,0]
	v_pk_mul_f16 v34, 0xb9fd, v34 op_sel_hi:[0,1]
	v_add_f16_e32 v70, v70, v96
	v_fma_f16 v96, v17, 0xb5ac, -v68
	v_fmac_f16_e32 v68, 0xb5ac, v17
	v_pk_add_f16 v29, v91, v29
	v_pk_add_f16 v25, v26, v25
	v_pk_fma_f16 v26, 0xb94e, v31, v34 op_sel:[0,0,1] op_sel_hi:[0,1,0] neg_lo:[0,1,0] neg_hi:[0,1,0]
	v_pk_mul_f16 v32, 0x388b, v32 op_sel_hi:[0,1]
	v_add_f16_e32 v68, v68, v73
	v_mul_lo_u16 v73, v50, 13
	v_pk_fma_f16 v31, 0xb94e, v31, v34 op_sel:[0,0,1] op_sel_hi:[0,1,0]
	v_pk_add_f16 v26, v26, v29
	v_pk_fma_f16 v29, 0x3a95, v27, v32 op_sel:[0,0,1] op_sel_hi:[0,1,0] neg_lo:[0,1,0] neg_hi:[0,1,0]
	v_pk_mul_f16 v30, 0xb5ac, v30 op_sel_hi:[0,1]
	v_and_b32_e32 v73, 0xffff, v73
	v_mul_f16_e32 v34, 0xb94e, v98
	v_pk_add_f16 v25, v31, v25
	v_pk_fma_f16 v27, 0x3a95, v27, v32 op_sel:[0,0,1] op_sel_hi:[0,1,0]
	v_pk_add_f16 v26, v29, v26
	v_pk_fma_f16 v29, 0xbb7b, v28, v30 op_sel:[0,0,1] op_sel_hi:[0,1,0] neg_lo:[0,1,0] neg_hi:[0,1,0]
	v_lshl_add_u32 v78, v73, 2, v37
	v_pk_mul_f16 v73, 0x3770b3a8, v98
	v_pk_add_f16 v25, v27, v25
	v_pk_fma_f16 v27, 0xbb7b, v28, v30 op_sel:[0,0,1] op_sel_hi:[0,1,0]
	v_pk_mul_f16 v17, 0x2fb7, v17 op_sel_hi:[0,1]
	v_pk_add_f16 v26, v29, v26
	v_bfi_b32 v29, 0xffff, v34, v93
	v_pack_b32_f16 v32, v33, v81
	v_pk_add_f16 v25, v27, v25
	v_pk_fma_f16 v27, 0x3bf1, v98, v17 op_sel:[0,0,1] op_sel_hi:[0,1,0] neg_lo:[0,1,0] neg_hi:[0,1,0]
	v_pack_b32_f16 v30, v94, v76
	v_bfi_b32 v33, 0xffff, v87, v73
	v_pk_add_f16 v29, v85, v29 neg_lo:[0,1] neg_hi:[0,1]
	v_pk_add_f16 v34, v97, v93
	v_add_f16_e32 v77, v106, v77
	v_pk_fma_f16 v17, 0x3bf1, v98, v17 op_sel:[0,0,1] op_sel_hi:[0,1,0]
	v_add_f16_e32 v75, v100, v75
	v_pk_add_f16 v26, v27, v26
	v_pk_add_f16 v27, v30, v33
	v_bfi_b32 v29, 0xffff, v29, v34
	v_add_f16_e32 v90, v96, v90
	v_add_f16_e32 v77, v18, v77
	v_alignbit_b32 v31, v86, v81, 16
	v_pk_add_f16 v17, v17, v25
	v_add_f16_e32 v80, v80, v84
	v_pack_b32_f16 v28, v75, v70
	v_pack_b32_f16 v70, v79, v88
	v_pk_add_f16 v27, v29, v27
	v_add_f16_e32 v18, v127, v82
	v_pack_b32_f16 v25, v90, v77
	s_barrier
	buffer_gl0_inv
	ds_write2_b32 v78, v32, v31 offset0:1 offset1:2
	ds_write2_b32 v78, v70, v28 offset0:3 offset1:4
	v_alignbit_b32 v28, v26, v17, 16
	v_alignbit_b32 v17, v17, v26, 16
	v_pack_b32_f16 v26, v72, v95
	v_pack_b32_f16 v29, v68, v80
	v_alignbit_b32 v30, v83, v27, 16
	v_pack_b32_f16 v27, v69, v27
	v_pack_b32_f16 v31, v71, v89
	ds_write2_b32 v78, v74, v25 offset1:5
	ds_write2_b32 v78, v17, v28 offset0:6 offset1:7
	ds_write2_b32 v78, v29, v26 offset0:8 offset1:9
	;; [unrolled: 1-line block ×3, first 2 shown]
	ds_write_b32 v78, v31 offset:48
	s_and_saveexec_b32 s2, vcc_lo
	s_cbranch_execz .LBB0_7
; %bb.6:
	v_pk_add_f16 v2, v3, v2
	v_alignbit_b32 v17, v65, v66, 16
	v_perm_b32 v3, v57, v18, 0x5040100
	v_pk_add_f16 v2, v23, v2
	v_perm_b32 v23, v58, v9, 0x5040100
	v_pk_add_f16 v2, v24, v2
	v_bfi_b32 v24, 0xffff, v54, v60
	v_pk_add_f16 v2, v19, v2
	v_perm_b32 v19, v61, v16, 0x5040100
	v_pk_add_f16 v2, v20, v2
	v_perm_b32 v20, v63, v15, 0x5040100
	;; [unrolled: 2-line block ×7, first 2 shown]
	ds_write2_b32 v37, v5, v4 offset0:171 offset1:172
	v_pk_add_f16 v0, v1, v0
	v_perm_b32 v1, v55, v10, 0x5040100
	v_pk_add_f16 v0, v67, v0
	ds_write2_b32 v37, v7, v6 offset0:173 offset1:174
	ds_write2_b32 v37, v2, v17 offset0:175 offset1:176
	;; [unrolled: 1-line block ×5, first 2 shown]
	ds_write_b32 v37, v24 offset:724
.LBB0_7:
	s_or_b32 exec_lo, exec_lo, s2
	v_add_nc_u16 v0, v50, 26
	v_add_nc_u16 v2, v50, 39
	;; [unrolled: 1-line block ×3, first 2 shown]
	v_lshlrev_b32_e32 v25, 2, v50
	v_add_nc_u16 v4, v50, 0x41
	v_and_b32_e32 v1, 0xff, v0
	v_and_b32_e32 v5, 0xff, v2
	v_add_nc_u16 v6, v50, 0x4e
	v_and_b32_e32 v7, 0xff, v3
	s_waitcnt lgkmcnt(0)
	v_mul_lo_u16 v1, 0x4f, v1
	s_barrier
	buffer_gl0_inv
	global_load_dword v67, v25, s[0:1]
	v_and_b32_e32 v17, 0xff, v4
	v_lshrrev_b16 v1, 10, v1
	v_mul_lo_u16 v5, 0x4f, v5
	v_and_b32_e32 v19, 0xff, v6
	v_mul_lo_u16 v7, 0x4f, v7
	v_mul_lo_u16 v17, 0x4f, v17
	;; [unrolled: 1-line block ×3, first 2 shown]
	v_lshrrev_b16 v5, 10, v5
	v_mul_lo_u16 v19, 0x4f, v19
	v_lshrrev_b16 v7, 10, v7
	v_lshrrev_b16 v17, 10, v17
	v_sub_nc_u16 v0, v0, v1
	v_mul_lo_u16 v1, v5, 13
	v_lshrrev_b16 v5, 10, v19
	v_mul_lo_u16 v7, v7, 13
	v_mov_b32_e32 v19, 2
	v_mul_lo_u16 v17, v17, 13
	v_sub_nc_u16 v1, v2, v1
	v_mul_lo_u16 v2, v5, 13
	v_sub_nc_u16 v3, v3, v7
	v_lshlrev_b32_sdwa v30, v19, v0 dst_sel:DWORD dst_unused:UNUSED_PAD src0_sel:DWORD src1_sel:BYTE_0
	v_sub_nc_u16 v0, v4, v17
	v_lshlrev_b32_sdwa v17, v19, v1 dst_sel:DWORD dst_unused:UNUSED_PAD src0_sel:DWORD src1_sel:BYTE_0
	;; [unrolled: 2-line block ×3, first 2 shown]
	global_load_dword v72, v30, s[0:1]
	v_lshlrev_b32_sdwa v32, v19, v0 dst_sel:DWORD dst_unused:UNUSED_PAD src0_sel:DWORD src1_sel:BYTE_0
	global_load_dword v71, v17, s[0:1]
	v_lshlrev_b32_sdwa v33, v19, v1 dst_sel:DWORD dst_unused:UNUSED_PAD src0_sel:DWORD src1_sel:BYTE_0
	s_clause 0x2
	global_load_dword v70, v31, s[0:1]
	global_load_dword v69, v32, s[0:1]
	;; [unrolled: 1-line block ×3, first 2 shown]
	ds_read2_b32 v[0:1], v40 offset1:13
	ds_read2_b32 v[2:3], v40 offset0:78 offset1:91
	ds_read2_b32 v[4:5], v40 offset0:104 offset1:117
	;; [unrolled: 1-line block ×6, first 2 shown]
	s_waitcnt vmcnt(0) lgkmcnt(0)
	s_barrier
	buffer_gl0_inv
	v_mad_u64_u32 v[28:29], null, v50, 24, s[0:1]
	s_add_u32 s0, s6, 0x2d8
	s_addc_u32 s1, s7, 0
	v_lshrrev_b32_e32 v34, 16, v0
	v_lshrrev_b32_e32 v73, 16, v3
	v_lshrrev_b32_e32 v75, 16, v4
	v_lshrrev_b32_e32 v74, 16, v1
	v_lshrrev_b32_e32 v80, 16, v5
	v_lshrrev_b32_e32 v82, 16, v19
	v_lshrrev_b32_e32 v84, 16, v20
	v_lshrrev_b32_e32 v86, 16, v26
	v_lshrrev_b32_e32 v88, 16, v27
	v_lshrrev_b32_e32 v79, 16, v6
	v_lshrrev_b32_e32 v81, 16, v7
	v_lshrrev_b32_e32 v83, 16, v23
	v_lshrrev_b32_e32 v85, 16, v24
	v_lshrrev_b32_e32 v87, 16, v2
	v_mul_f16_sdwa v76, v73, v67 dst_sel:DWORD dst_unused:UNUSED_PAD src0_sel:DWORD src1_sel:WORD_1
	v_mul_f16_sdwa v77, v3, v67 dst_sel:DWORD dst_unused:UNUSED_PAD src0_sel:DWORD src1_sel:WORD_1
	;; [unrolled: 1-line block ×4, first 2 shown]
	v_fma_f16 v3, v3, v67, -v76
	v_fmac_f16_e32 v77, v73, v67
	v_fma_f16 v4, v4, v67, -v89
	v_fmac_f16_e32 v90, v75, v67
	v_add_nc_u32_e32 v73, v37, v30
	v_sub_f16_e32 v3, v0, v3
	v_sub_f16_e32 v75, v34, v77
	;; [unrolled: 1-line block ×4, first 2 shown]
	v_add_nc_u32_e32 v77, v37, v33
	v_fma_f16 v0, v0, 2.0, -v3
	v_fma_f16 v30, v34, 2.0, -v75
	;; [unrolled: 1-line block ×4, first 2 shown]
	v_pack_b32_f16 v3, v3, v75
	v_pack_b32_f16 v4, v4, v76
	;; [unrolled: 1-line block ×3, first 2 shown]
	v_add_nc_u32_e32 v74, v37, v17
	v_pack_b32_f16 v1, v1, v34
	ds_write2_b32 v40, v0, v3 offset1:13
	ds_write2_b32 v40, v1, v4 offset0:26 offset1:39
	v_mul_f16_sdwa v0, v80, v72 dst_sel:DWORD dst_unused:UNUSED_PAD src0_sel:DWORD src1_sel:WORD_1
	v_mul_f16_sdwa v1, v5, v72 dst_sel:DWORD dst_unused:UNUSED_PAD src0_sel:DWORD src1_sel:WORD_1
	;; [unrolled: 1-line block ×6, first 2 shown]
	v_add_nc_u32_e32 v75, v37, v31
	v_add_nc_u32_e32 v76, v37, v32
	v_mul_f16_sdwa v31, v86, v69 dst_sel:DWORD dst_unused:UNUSED_PAD src0_sel:DWORD src1_sel:WORD_1
	v_mul_f16_sdwa v32, v26, v69 dst_sel:DWORD dst_unused:UNUSED_PAD src0_sel:DWORD src1_sel:WORD_1
	;; [unrolled: 1-line block ×4, first 2 shown]
	v_fma_f16 v0, v5, v72, -v0
	v_fmac_f16_e32 v1, v80, v72
	v_fma_f16 v3, v19, v71, -v3
	v_fmac_f16_e32 v4, v82, v71
	;; [unrolled: 2-line block ×5, first 2 shown]
	v_sub_f16_e32 v0, v6, v0
	v_sub_f16_e32 v1, v79, v1
	;; [unrolled: 1-line block ×10, first 2 shown]
	v_fma_f16 v6, v6, 2.0, -v0
	v_fma_f16 v30, v79, 2.0, -v1
	;; [unrolled: 1-line block ×10, first 2 shown]
	v_pack_b32_f16 v0, v0, v1
	v_pack_b32_f16 v6, v6, v30
	;; [unrolled: 1-line block ×10, first 2 shown]
	ds_write2_b32 v73, v6, v0 offset0:52 offset1:65
	ds_write2_b32 v74, v7, v1 offset0:78 offset1:91
	;; [unrolled: 1-line block ×5, first 2 shown]
	s_waitcnt lgkmcnt(0)
	s_barrier
	buffer_gl0_inv
	s_clause 0x3
	global_load_dwordx4 v[4:7], v[28:29], off offset:52
	global_load_dwordx2 v[23:24], v[28:29], off offset:68
	global_load_dwordx4 v[0:3], v[28:29], off offset:364
	global_load_dwordx2 v[19:20], v[28:29], off offset:380
	ds_read2_b32 v[26:27], v40 offset0:26 offset1:39
	ds_read2_b32 v[28:29], v40 offset0:52 offset1:65
	;; [unrolled: 1-line block ×6, first 2 shown]
	v_lshl_add_u32 v80, v36, 2, v35
	ds_read2_b32 v[34:35], v40 offset1:13
	s_waitcnt lgkmcnt(6)
	v_lshrrev_b32_e32 v17, 16, v26
	s_waitcnt lgkmcnt(5)
	v_lshrrev_b32_e32 v36, 16, v28
	;; [unrolled: 2-line block ×6, first 2 shown]
	v_lshrrev_b32_e32 v88, 16, v27
	v_lshrrev_b32_e32 v89, 16, v29
	;; [unrolled: 1-line block ×6, first 2 shown]
	s_waitcnt vmcnt(3)
	v_mul_f16_sdwa v94, v17, v4 dst_sel:DWORD dst_unused:UNUSED_PAD src0_sel:DWORD src1_sel:WORD_1
	v_mul_f16_sdwa v95, v26, v4 dst_sel:DWORD dst_unused:UNUSED_PAD src0_sel:DWORD src1_sel:WORD_1
	;; [unrolled: 1-line block ×6, first 2 shown]
	s_waitcnt vmcnt(2)
	v_mul_f16_sdwa v102, v86, v23 dst_sel:DWORD dst_unused:UNUSED_PAD src0_sel:DWORD src1_sel:WORD_1
	v_mul_f16_sdwa v103, v81, v23 dst_sel:DWORD dst_unused:UNUSED_PAD src0_sel:DWORD src1_sel:WORD_1
	;; [unrolled: 1-line block ×6, first 2 shown]
	s_waitcnt vmcnt(1)
	v_mul_f16_sdwa v106, v88, v0 dst_sel:DWORD dst_unused:UNUSED_PAD src0_sel:DWORD src1_sel:WORD_1
	v_mul_f16_sdwa v107, v27, v0 dst_sel:DWORD dst_unused:UNUSED_PAD src0_sel:DWORD src1_sel:WORD_1
	v_mul_f16_sdwa v108, v89, v1 dst_sel:DWORD dst_unused:UNUSED_PAD src0_sel:DWORD src1_sel:WORD_1
	v_mul_f16_sdwa v109, v29, v1 dst_sel:DWORD dst_unused:UNUSED_PAD src0_sel:DWORD src1_sel:WORD_1
	s_waitcnt vmcnt(0)
	v_mul_f16_sdwa v114, v92, v19 dst_sel:DWORD dst_unused:UNUSED_PAD src0_sel:DWORD src1_sel:WORD_1
	v_mul_f16_sdwa v115, v82, v19 dst_sel:DWORD dst_unused:UNUSED_PAD src0_sel:DWORD src1_sel:WORD_1
	;; [unrolled: 1-line block ×8, first 2 shown]
	v_fma_f16 v26, v26, v4, -v94
	v_fmac_f16_e32 v95, v17, v4
	v_fma_f16 v17, v28, v5, -v96
	v_fmac_f16_e32 v97, v36, v5
	v_fma_f16 v28, v30, v6, -v98
	v_fma_f16 v30, v32, v7, -v100
	;; [unrolled: 1-line block ×3, first 2 shown]
	v_fmac_f16_e32 v103, v86, v23
	v_fma_f16 v36, v83, v24, -v104
	v_fmac_f16_e32 v105, v87, v24
	v_fmac_f16_e32 v99, v79, v6
	;; [unrolled: 1-line block ×3, first 2 shown]
	v_fma_f16 v27, v27, v0, -v106
	v_fmac_f16_e32 v107, v88, v0
	v_fma_f16 v29, v29, v1, -v108
	v_fmac_f16_e32 v109, v89, v1
	v_fma_f16 v79, v82, v19, -v114
	v_fmac_f16_e32 v115, v92, v19
	v_fma_f16 v81, v84, v20, -v116
	v_fmac_f16_e32 v117, v93, v20
	v_fma_f16 v31, v31, v2, -v110
	v_fmac_f16_e32 v111, v90, v2
	v_fma_f16 v33, v33, v3, -v112
	v_fmac_f16_e32 v113, v91, v3
	v_add_f16_e32 v82, v26, v36
	v_add_f16_e32 v83, v95, v105
	;; [unrolled: 1-line block ×4, first 2 shown]
	v_sub_f16_e32 v26, v26, v36
	v_sub_f16_e32 v36, v95, v105
	;; [unrolled: 1-line block ×4, first 2 shown]
	v_add_f16_e32 v86, v28, v30
	v_add_f16_e32 v87, v99, v101
	v_sub_f16_e32 v28, v30, v28
	v_sub_f16_e32 v30, v101, v99
	v_add_f16_e32 v88, v27, v81
	v_add_f16_e32 v89, v107, v117
	v_add_f16_e32 v90, v29, v79
	v_add_f16_e32 v91, v109, v115
	v_sub_f16_e32 v27, v27, v81
	v_sub_f16_e32 v81, v107, v117
	;; [unrolled: 1-line block ×4, first 2 shown]
	v_add_f16_e32 v92, v31, v33
	v_sub_f16_e32 v31, v33, v31
	v_sub_f16_e32 v33, v113, v111
	v_add_f16_e32 v94, v84, v82
	v_add_f16_e32 v95, v85, v83
	;; [unrolled: 1-line block ×3, first 2 shown]
	v_sub_f16_e32 v96, v84, v82
	v_sub_f16_e32 v97, v85, v83
	;; [unrolled: 1-line block ×6, first 2 shown]
	v_add_f16_e32 v98, v28, v17
	v_add_f16_e32 v99, v30, v32
	v_sub_f16_e32 v100, v28, v17
	v_sub_f16_e32 v101, v30, v32
	;; [unrolled: 1-line block ×4, first 2 shown]
	v_add_f16_e32 v102, v90, v88
	v_add_f16_e32 v103, v91, v89
	v_sub_f16_e32 v104, v90, v88
	v_sub_f16_e32 v90, v92, v90
	v_add_f16_e32 v106, v31, v29
	v_add_f16_e32 v107, v33, v79
	v_sub_f16_e32 v108, v31, v29
	v_sub_f16_e32 v109, v33, v79
	;; [unrolled: 1-line block ×4, first 2 shown]
	v_add_f16_e32 v86, v86, v94
	v_add_f16_e32 v87, v87, v95
	v_sub_f16_e32 v28, v26, v28
	v_sub_f16_e32 v30, v36, v30
	;; [unrolled: 1-line block ×6, first 2 shown]
	v_add_f16_e32 v26, v98, v26
	v_add_f16_e32 v36, v99, v36
	v_mul_f16_e32 v82, 0x3a52, v82
	v_mul_f16_e32 v83, 0x3a52, v83
	v_mul_f16_e32 v94, 0x2b26, v84
	v_mul_f16_e32 v95, 0x2b26, v85
	v_mul_f16_e32 v98, 0xb846, v100
	v_mul_f16_e32 v99, 0xb846, v101
	v_mul_f16_e32 v100, 0x3b00, v17
	v_mul_f16_e32 v101, 0x3b00, v32
	v_add_f16_e32 v92, v92, v102
	v_add_f16_e32 v93, v93, v103
	v_sub_f16_e32 v31, v27, v31
	v_sub_f16_e32 v33, v81, v33
	v_add_f16_e32 v27, v106, v27
	v_add_f16_e32 v81, v107, v81
	v_mul_f16_e32 v102, 0x2b26, v90
	v_mul_f16_e32 v106, 0xb846, v108
	;; [unrolled: 1-line block ×5, first 2 shown]
	s_waitcnt lgkmcnt(0)
	v_add_f16_e32 v110, v34, v86
	v_add_f16_sdwa v34, v34, v87 dst_sel:DWORD dst_unused:UNUSED_PAD src0_sel:WORD_1 src1_sel:DWORD
	v_mul_f16_e32 v88, 0x3a52, v88
	v_mul_f16_e32 v89, 0x3a52, v89
	;; [unrolled: 1-line block ×3, first 2 shown]
	v_fmamk_f16 v84, v84, 0x2b26, v82
	v_fmamk_f16 v85, v85, 0x2b26, v83
	v_fma_f16 v94, v96, 0x39e0, -v94
	v_fma_f16 v95, v97, 0x39e0, -v95
	;; [unrolled: 1-line block ×4, first 2 shown]
	v_fmamk_f16 v96, v28, 0x3574, v98
	v_fmamk_f16 v97, v30, 0x3574, v99
	v_fma_f16 v17, v17, 0x3b00, -v98
	v_fma_f16 v32, v32, 0x3b00, -v99
	;; [unrolled: 1-line block ×4, first 2 shown]
	v_add_f16_e32 v98, v35, v92
	v_add_f16_sdwa v35, v35, v93 dst_sel:DWORD dst_unused:UNUSED_PAD src0_sel:WORD_1 src1_sel:DWORD
	v_fma_f16 v99, v104, 0x39e0, -v102
	v_fmamk_f16 v101, v31, 0x3574, v106
	v_fmamk_f16 v102, v33, 0x3574, v107
	v_fma_f16 v29, v29, 0x3b00, -v106
	v_fma_f16 v79, v79, 0x3b00, -v107
	;; [unrolled: 1-line block ×4, first 2 shown]
	v_fmamk_f16 v86, v86, 0xbcab, v110
	v_fmamk_f16 v87, v87, 0xbcab, v34
	;; [unrolled: 1-line block ×4, first 2 shown]
	v_fma_f16 v100, v105, 0x39e0, -v103
	v_fma_f16 v88, v104, 0xb9e0, -v88
	;; [unrolled: 1-line block ×3, first 2 shown]
	v_fmac_f16_e32 v96, 0x370e, v26
	v_fmac_f16_e32 v97, 0x370e, v36
	;; [unrolled: 1-line block ×6, first 2 shown]
	v_fmamk_f16 v26, v92, 0xbcab, v98
	v_fmamk_f16 v36, v93, 0xbcab, v35
	v_fmac_f16_e32 v101, 0x370e, v27
	v_fmac_f16_e32 v102, 0x370e, v81
	;; [unrolled: 1-line block ×6, first 2 shown]
	v_pack_b32_f16 v27, v110, v34
	v_pack_b32_f16 v34, v98, v35
	v_add_f16_e32 v35, v84, v86
	v_add_f16_e32 v81, v85, v87
	v_add_f16_e32 v82, v82, v86
	v_add_f16_e32 v83, v83, v87
	v_add_f16_e32 v84, v94, v86
	v_add_f16_e32 v85, v95, v87
	v_add_f16_e32 v86, v90, v26
	v_add_f16_e32 v87, v91, v36
	v_add_f16_e32 v90, v99, v26
	v_add_f16_e32 v91, v100, v36
	v_add_f16_e32 v26, v88, v26
	v_add_f16_e32 v36, v89, v36
	v_add_f16_e32 v88, v97, v35
	v_sub_f16_e32 v89, v81, v96
	v_add_f16_e32 v92, v30, v82
	v_sub_f16_e32 v93, v83, v28
	v_sub_f16_e32 v94, v84, v32
	v_add_f16_e32 v95, v17, v85
	v_add_f16_e32 v32, v32, v84
	v_sub_f16_e32 v84, v85, v17
	v_sub_f16_e32 v30, v82, v30
	v_add_f16_e32 v28, v28, v83
	v_sub_f16_e32 v35, v35, v97
	v_add_f16_e32 v81, v96, v81
	v_add_f16_e32 v82, v102, v86
	v_sub_f16_e32 v83, v87, v101
	v_add_f16_e32 v85, v33, v26
	v_sub_f16_e32 v96, v36, v31
	v_sub_f16_e32 v97, v90, v79
	v_add_f16_e32 v98, v29, v91
	v_add_f16_e32 v90, v79, v90
	v_sub_f16_e32 v29, v91, v29
	v_sub_f16_e32 v26, v26, v33
	v_add_f16_e32 v31, v31, v36
	v_sub_f16_e32 v17, v86, v102
	v_add_f16_e32 v79, v101, v87
	v_pack_b32_f16 v33, v88, v89
	v_pack_b32_f16 v36, v92, v93
	;; [unrolled: 1-line block ×12, first 2 shown]
	ds_write2_b32 v40, v33, v36 offset0:26 offset1:52
	ds_write2_b32 v40, v86, v32 offset0:78 offset1:104
	;; [unrolled: 1-line block ×3, first 2 shown]
	ds_write2_b32 v40, v27, v34 offset1:13
	ds_write2_b32 v80, v35, v81 offset0:39 offset1:65
	ds_write2_b32 v80, v82, v29 offset0:91 offset1:117
	;; [unrolled: 1-line block ×3, first 2 shown]
	s_waitcnt lgkmcnt(0)
	s_barrier
	buffer_gl0_inv
	s_clause 0xc
	global_load_dword v35, v[21:22], off offset:728
	global_load_dword v36, v25, s[0:1] offset:56
	global_load_dword v81, v25, s[0:1] offset:112
	;; [unrolled: 1-line block ×12, first 2 shown]
	ds_read2_b32 v[21:22], v40 offset1:14
	ds_read2_b32 v[25:26], v40 offset0:28 offset1:42
	ds_read2_b32 v[27:28], v40 offset0:56 offset1:70
	;; [unrolled: 1-line block ×5, first 2 shown]
	ds_read_b32 v92, v40 offset:672
	s_waitcnt lgkmcnt(6)
	v_lshrrev_b32_e32 v93, 16, v21
	v_lshrrev_b32_e32 v94, 16, v22
	s_waitcnt lgkmcnt(5)
	v_lshrrev_b32_e32 v95, 16, v25
	v_lshrrev_b32_e32 v96, 16, v26
	;; [unrolled: 3-line block ×6, first 2 shown]
	s_waitcnt lgkmcnt(0)
	v_lshrrev_b32_e32 v105, 16, v92
	s_waitcnt vmcnt(12)
	v_mul_f16_sdwa v106, v93, v35 dst_sel:DWORD dst_unused:UNUSED_PAD src0_sel:DWORD src1_sel:WORD_1
	v_mul_f16_sdwa v107, v21, v35 dst_sel:DWORD dst_unused:UNUSED_PAD src0_sel:DWORD src1_sel:WORD_1
	s_waitcnt vmcnt(11)
	v_mul_f16_sdwa v108, v94, v36 dst_sel:DWORD dst_unused:UNUSED_PAD src0_sel:DWORD src1_sel:WORD_1
	v_mul_f16_sdwa v109, v22, v36 dst_sel:DWORD dst_unused:UNUSED_PAD src0_sel:DWORD src1_sel:WORD_1
	;; [unrolled: 3-line block ×13, first 2 shown]
	v_fma_f16 v21, v21, v35, -v106
	v_fmac_f16_e32 v107, v93, v35
	v_fma_f16 v22, v22, v36, -v108
	v_fmac_f16_e32 v109, v94, v36
	;; [unrolled: 2-line block ×13, first 2 shown]
	v_pack_b32_f16 v21, v21, v107
	v_pack_b32_f16 v22, v22, v109
	;; [unrolled: 1-line block ×13, first 2 shown]
	ds_write2_b32 v40, v21, v22 offset1:14
	ds_write2_b32 v40, v25, v26 offset0:28 offset1:42
	ds_write2_b32 v40, v27, v28 offset0:56 offset1:70
	;; [unrolled: 1-line block ×5, first 2 shown]
	ds_write_b32 v40, v35 offset:672
	s_and_saveexec_b32 s0, vcc_lo
	s_cbranch_execz .LBB0_9
; %bb.8:
	v_mov_b32_e32 v21, 0
	s_clause 0xc
	global_load_dword v35, v21, s[6:7] offset:780
	global_load_dword v36, v21, s[6:7] offset:836
	global_load_dword v81, v21, s[6:7] offset:892
	global_load_dword v82, v21, s[6:7] offset:948
	global_load_dword v83, v21, s[6:7] offset:1004
	global_load_dword v84, v21, s[6:7] offset:1060
	global_load_dword v85, v21, s[6:7] offset:1116
	global_load_dword v86, v21, s[6:7] offset:1172
	global_load_dword v87, v21, s[6:7] offset:1228
	global_load_dword v88, v21, s[6:7] offset:1284
	global_load_dword v89, v21, s[6:7] offset:1340
	global_load_dword v90, v21, s[6:7] offset:1396
	global_load_dword v91, v21, s[6:7] offset:1452
	ds_read2_b32 v[21:22], v37 offset0:13 offset1:27
	ds_read2_b32 v[25:26], v37 offset0:41 offset1:55
	ds_read2_b32 v[27:28], v37 offset0:69 offset1:83
	ds_read2_b32 v[29:30], v37 offset0:97 offset1:111
	ds_read2_b32 v[31:32], v37 offset0:125 offset1:139
	ds_read2_b32 v[33:34], v37 offset0:153 offset1:167
	ds_read_b32 v92, v37 offset:724
	s_waitcnt lgkmcnt(6)
	v_lshrrev_b32_e32 v93, 16, v21
	v_lshrrev_b32_e32 v94, 16, v22
	s_waitcnt lgkmcnt(5)
	v_lshrrev_b32_e32 v95, 16, v25
	v_lshrrev_b32_e32 v96, 16, v26
	;; [unrolled: 3-line block ×6, first 2 shown]
	s_waitcnt lgkmcnt(0)
	v_lshrrev_b32_e32 v105, 16, v92
	s_waitcnt vmcnt(12)
	v_mul_f16_sdwa v106, v93, v35 dst_sel:DWORD dst_unused:UNUSED_PAD src0_sel:DWORD src1_sel:WORD_1
	v_mul_f16_sdwa v107, v21, v35 dst_sel:DWORD dst_unused:UNUSED_PAD src0_sel:DWORD src1_sel:WORD_1
	s_waitcnt vmcnt(11)
	v_mul_f16_sdwa v108, v94, v36 dst_sel:DWORD dst_unused:UNUSED_PAD src0_sel:DWORD src1_sel:WORD_1
	v_mul_f16_sdwa v109, v22, v36 dst_sel:DWORD dst_unused:UNUSED_PAD src0_sel:DWORD src1_sel:WORD_1
	s_waitcnt vmcnt(10)
	v_mul_f16_sdwa v110, v95, v81 dst_sel:DWORD dst_unused:UNUSED_PAD src0_sel:DWORD src1_sel:WORD_1
	v_mul_f16_sdwa v111, v25, v81 dst_sel:DWORD dst_unused:UNUSED_PAD src0_sel:DWORD src1_sel:WORD_1
	s_waitcnt vmcnt(9)
	v_mul_f16_sdwa v112, v96, v82 dst_sel:DWORD dst_unused:UNUSED_PAD src0_sel:DWORD src1_sel:WORD_1
	v_mul_f16_sdwa v113, v26, v82 dst_sel:DWORD dst_unused:UNUSED_PAD src0_sel:DWORD src1_sel:WORD_1
	s_waitcnt vmcnt(8)
	v_mul_f16_sdwa v114, v97, v83 dst_sel:DWORD dst_unused:UNUSED_PAD src0_sel:DWORD src1_sel:WORD_1
	v_mul_f16_sdwa v115, v27, v83 dst_sel:DWORD dst_unused:UNUSED_PAD src0_sel:DWORD src1_sel:WORD_1
	s_waitcnt vmcnt(7)
	v_mul_f16_sdwa v116, v98, v84 dst_sel:DWORD dst_unused:UNUSED_PAD src0_sel:DWORD src1_sel:WORD_1
	v_mul_f16_sdwa v117, v28, v84 dst_sel:DWORD dst_unused:UNUSED_PAD src0_sel:DWORD src1_sel:WORD_1
	s_waitcnt vmcnt(6)
	v_mul_f16_sdwa v118, v99, v85 dst_sel:DWORD dst_unused:UNUSED_PAD src0_sel:DWORD src1_sel:WORD_1
	v_mul_f16_sdwa v119, v29, v85 dst_sel:DWORD dst_unused:UNUSED_PAD src0_sel:DWORD src1_sel:WORD_1
	s_waitcnt vmcnt(5)
	v_mul_f16_sdwa v120, v100, v86 dst_sel:DWORD dst_unused:UNUSED_PAD src0_sel:DWORD src1_sel:WORD_1
	v_mul_f16_sdwa v121, v30, v86 dst_sel:DWORD dst_unused:UNUSED_PAD src0_sel:DWORD src1_sel:WORD_1
	s_waitcnt vmcnt(4)
	v_mul_f16_sdwa v122, v101, v87 dst_sel:DWORD dst_unused:UNUSED_PAD src0_sel:DWORD src1_sel:WORD_1
	v_mul_f16_sdwa v123, v31, v87 dst_sel:DWORD dst_unused:UNUSED_PAD src0_sel:DWORD src1_sel:WORD_1
	s_waitcnt vmcnt(3)
	v_mul_f16_sdwa v124, v102, v88 dst_sel:DWORD dst_unused:UNUSED_PAD src0_sel:DWORD src1_sel:WORD_1
	v_mul_f16_sdwa v125, v32, v88 dst_sel:DWORD dst_unused:UNUSED_PAD src0_sel:DWORD src1_sel:WORD_1
	s_waitcnt vmcnt(2)
	v_mul_f16_sdwa v126, v103, v89 dst_sel:DWORD dst_unused:UNUSED_PAD src0_sel:DWORD src1_sel:WORD_1
	v_mul_f16_sdwa v127, v33, v89 dst_sel:DWORD dst_unused:UNUSED_PAD src0_sel:DWORD src1_sel:WORD_1
	s_waitcnt vmcnt(1)
	v_mul_f16_sdwa v128, v104, v90 dst_sel:DWORD dst_unused:UNUSED_PAD src0_sel:DWORD src1_sel:WORD_1
	v_mul_f16_sdwa v129, v34, v90 dst_sel:DWORD dst_unused:UNUSED_PAD src0_sel:DWORD src1_sel:WORD_1
	s_waitcnt vmcnt(0)
	v_mul_f16_sdwa v130, v105, v91 dst_sel:DWORD dst_unused:UNUSED_PAD src0_sel:DWORD src1_sel:WORD_1
	v_mul_f16_sdwa v131, v92, v91 dst_sel:DWORD dst_unused:UNUSED_PAD src0_sel:DWORD src1_sel:WORD_1
	v_fma_f16 v21, v21, v35, -v106
	v_fmac_f16_e32 v107, v93, v35
	v_fma_f16 v22, v22, v36, -v108
	v_fmac_f16_e32 v109, v94, v36
	v_fma_f16 v25, v25, v81, -v110
	v_fmac_f16_e32 v111, v95, v81
	v_fma_f16 v26, v26, v82, -v112
	v_fmac_f16_e32 v113, v96, v82
	v_fma_f16 v27, v27, v83, -v114
	v_fmac_f16_e32 v115, v97, v83
	v_fma_f16 v28, v28, v84, -v116
	v_fmac_f16_e32 v117, v98, v84
	v_fma_f16 v29, v29, v85, -v118
	v_fmac_f16_e32 v119, v99, v85
	v_fma_f16 v30, v30, v86, -v120
	v_fmac_f16_e32 v121, v100, v86
	v_fma_f16 v31, v31, v87, -v122
	v_fmac_f16_e32 v123, v101, v87
	v_fma_f16 v32, v32, v88, -v124
	v_fmac_f16_e32 v125, v102, v88
	v_fma_f16 v33, v33, v89, -v126
	v_fmac_f16_e32 v127, v103, v89
	v_fma_f16 v34, v34, v90, -v128
	v_fmac_f16_e32 v129, v104, v90
	v_fma_f16 v35, v92, v91, -v130
	v_fmac_f16_e32 v131, v105, v91
	v_pack_b32_f16 v21, v21, v107
	v_pack_b32_f16 v22, v22, v109
	;; [unrolled: 1-line block ×13, first 2 shown]
	ds_write2_b32 v37, v21, v22 offset0:13 offset1:27
	ds_write2_b32 v37, v25, v26 offset0:41 offset1:55
	ds_write2_b32 v37, v27, v28 offset0:69 offset1:83
	ds_write2_b32 v37, v29, v30 offset0:97 offset1:111
	ds_write2_b32 v37, v31, v32 offset0:125 offset1:139
	ds_write2_b32 v37, v33, v34 offset0:153 offset1:167
	ds_write_b32 v37, v35 offset:724
.LBB0_9:
	s_or_b32 exec_lo, exec_lo, s0
	s_waitcnt lgkmcnt(0)
	s_barrier
	buffer_gl0_inv
	ds_read2_b32 v[25:26], v40 offset1:14
	ds_read2_b32 v[33:34], v40 offset0:28 offset1:42
	ds_read2_b32 v[29:30], v40 offset0:56 offset1:70
	;; [unrolled: 1-line block ×5, first 2 shown]
	ds_read_b32 v83, v40 offset:672
	v_lshrrev_b32_e32 v22, 16, v66
	s_and_saveexec_b32 s0, vcc_lo
	s_cbranch_execz .LBB0_11
; %bb.10:
	ds_read2_b32 v[17:18], v37 offset0:13 offset1:27
	ds_read2_b32 v[11:12], v37 offset0:41 offset1:55
	;; [unrolled: 1-line block ×6, first 2 shown]
	ds_read_b32 v54, v37 offset:724
	s_waitcnt lgkmcnt(6)
	v_lshrrev_b32_e32 v79, 16, v17
	v_lshrrev_b32_e32 v57, 16, v18
	s_waitcnt lgkmcnt(5)
	v_lshrrev_b32_e32 v56, 16, v11
	v_lshrrev_b32_e32 v59, 16, v12
	;; [unrolled: 3-line block ×6, first 2 shown]
	s_waitcnt lgkmcnt(0)
	v_bfi_b32 v60, 0xffff, v21, v54
.LBB0_11:
	s_or_b32 exec_lo, exec_lo, s0
	s_waitcnt lgkmcnt(6)
	v_pk_add_f16 v81, v25, v26
	v_add_nc_u32_e32 v21, 52, v80
	s_waitcnt lgkmcnt(0)
	v_pk_add_f16 v82, v83, v26
	v_pk_add_f16 v26, v26, v83 neg_lo:[0,1] neg_hi:[0,1]
	v_pk_add_f16 v107, v33, v36 neg_lo:[0,1] neg_hi:[0,1]
	v_pk_add_f16 v80, v81, v33
	v_mov_b32_e32 v85, 0x388b
	v_pk_add_f16 v110, v36, v33
	v_pk_mul_f16 v81, 0xb770, v26 op_sel_hi:[0,1]
	v_mov_b32_e32 v84, 0xba95
	v_pk_add_f16 v80, v80, v34
	v_mov_b32_e32 v89, 0xb5ac
	v_mul_f16_sdwa v93, v82, v85 dst_sel:DWORD dst_unused:UNUSED_PAD src0_sel:WORD_1 src1_sel:DWORD
	v_mov_b32_e32 v87, 0x2fb7
	v_mov_b32_e32 v88, 0xbb7b
	v_pk_add_f16 v80, v80, v29
	v_mul_f16_sdwa v92, v26, v84 dst_sel:DWORD dst_unused:UNUSED_PAD src0_sel:WORD_1 src1_sel:DWORD
	v_fmamk_f16 v100, v26, 0x3a95, v93
	v_mul_f16_sdwa v112, v110, v89 dst_sel:DWORD dst_unused:UNUSED_PAD src0_sel:WORD_1 src1_sel:DWORD
	v_mov_b32_e32 v86, 0xbbf1
	v_pk_add_f16 v80, v80, v30
	v_mul_f16_sdwa v95, v82, v87 dst_sel:DWORD dst_unused:UNUSED_PAD src0_sel:WORD_1 src1_sel:DWORD
	v_fmamk_f16 v99, v82, 0x388b, v92
	v_fma_f16 v92, v82, 0x388b, -v92
	v_fmac_f16_e32 v93, 0xba95, v26
	v_pk_add_f16 v97, v80, v27
	v_pk_fma_f16 v80, 0x3b15, v82, v81 op_sel:[0,0,1] op_sel_hi:[0,1,0]
	v_pk_fma_f16 v81, 0x3b15, v82, v81 op_sel:[0,0,1] op_sel_hi:[0,1,0] neg_lo:[0,0,1] neg_hi:[0,0,1]
	v_add_f16_sdwa v100, v25, v100 dst_sel:DWORD dst_unused:UNUSED_PAD src0_sel:WORD_1 src1_sel:DWORD
	v_mul_f16_sdwa v111, v107, v88 dst_sel:DWORD dst_unused:UNUSED_PAD src0_sel:WORD_1 src1_sel:DWORD
	v_pk_add_f16 v97, v97, v28
	v_fmamk_f16 v116, v107, 0x3b7b, v112
	v_bfi_b32 v105, 0xffff, v80, v81
	v_mul_f16_sdwa v94, v26, v86 dst_sel:DWORD dst_unused:UNUSED_PAD src0_sel:WORD_1 src1_sel:DWORD
	v_mul_f16_sdwa v96, v26, v88 dst_sel:DWORD dst_unused:UNUSED_PAD src0_sel:WORD_1 src1_sel:DWORD
	v_pk_add_f16 v97, v97, v31
	v_fmamk_f16 v102, v26, 0x3bf1, v95
	v_pk_add_f16 v105, v25, v105
	v_add_f16_e32 v99, v25, v99
	v_add_f16_e32 v92, v25, v92
	v_pk_add_f16 v97, v97, v32
	v_add_f16_sdwa v93, v25, v93 dst_sel:DWORD dst_unused:UNUSED_PAD src0_sel:WORD_1 src1_sel:DWORD
	v_fmamk_f16 v114, v110, 0xb5ac, v111
	v_mov_b32_e32 v115, 0xb3a8
	v_add_f16_e32 v100, v116, v100
	v_pk_add_f16 v97, v97, v35
	v_fma_f16 v111, v110, 0xb5ac, -v111
	v_fmac_f16_e32 v112, 0xbb7b, v107
	v_mov_b32_e32 v118, 0x394e
	v_mul_f16_sdwa v98, v82, v89 dst_sel:DWORD dst_unused:UNUSED_PAD src0_sel:WORD_1 src1_sel:DWORD
	v_pk_add_f16 v97, v97, v36
	v_pk_mul_f16 v36, 0xba95, v107 op_sel_hi:[0,1]
	v_fmamk_f16 v101, v82, 0x2fb7, v94
	v_fmamk_f16 v103, v82, 0xb5ac, v96
	v_add_f16_sdwa v102, v25, v102 dst_sel:DWORD dst_unused:UNUSED_PAD src0_sel:WORD_1 src1_sel:DWORD
	v_add_f16_e32 v99, v114, v99
	v_pk_fma_f16 v33, 0x388b, v110, v36 op_sel:[0,0,1] op_sel_hi:[0,1,0]
	v_pk_fma_f16 v36, 0x388b, v110, v36 op_sel:[0,0,1] op_sel_hi:[0,1,0] neg_lo:[0,0,1] neg_hi:[0,0,1]
	v_mul_f16_sdwa v114, v107, v115 dst_sel:DWORD dst_unused:UNUSED_PAD src0_sel:WORD_1 src1_sel:DWORD
	v_add_f16_e32 v92, v111, v92
	v_add_f16_e32 v93, v112, v93
	v_mul_f16_sdwa v112, v107, v118 dst_sel:DWORD dst_unused:UNUSED_PAD src0_sel:WORD_1 src1_sel:DWORD
	v_bfi_b32 v113, 0xffff, v33, v36
	v_mov_b32_e32 v90, 0xb94e
	v_mov_b32_e32 v91, 0xb9fd
	v_fma_f16 v94, v82, 0x2fb7, -v94
	v_fmamk_f16 v104, v26, 0x3b7b, v98
	v_pk_add_f16 v105, v113, v105
	v_mov_b32_e32 v113, 0xbbc4
	v_fma_f16 v96, v82, 0xb5ac, -v96
	v_add_f16_e32 v101, v25, v101
	v_pk_add_f16 v83, v97, v83
	v_add_f16_e32 v97, v25, v103
	v_mul_f16_sdwa v116, v110, v113 dst_sel:DWORD dst_unused:UNUSED_PAD src0_sel:WORD_1 src1_sel:DWORD
	v_fmamk_f16 v117, v110, 0xbbc4, v114
	v_fmac_f16_e32 v95, 0xbbf1, v26
	v_add_f16_e32 v94, v25, v94
	v_add_f16_sdwa v103, v25, v104 dst_sel:DWORD dst_unused:UNUSED_PAD src0_sel:WORD_1 src1_sel:DWORD
	v_fmamk_f16 v111, v107, 0x33a8, v116
	v_mul_f16_sdwa v104, v26, v90 dst_sel:DWORD dst_unused:UNUSED_PAD src0_sel:WORD_1 src1_sel:DWORD
	v_add_f16_e32 v96, v25, v96
	v_add_f16_e32 v101, v117, v101
	v_fma_f16 v114, v110, 0xbbc4, -v114
	v_add_f16_e32 v102, v111, v102
	v_fmamk_f16 v111, v110, 0xb9fd, v112
	v_mul_f16_sdwa v117, v110, v91 dst_sel:DWORD dst_unused:UNUSED_PAD src0_sel:WORD_1 src1_sel:DWORD
	v_mov_b32_e32 v119, 0x3bf1
	v_add_f16_sdwa v95, v25, v95 dst_sel:DWORD dst_unused:UNUSED_PAD src0_sel:WORD_1 src1_sel:DWORD
	v_mul_f16_sdwa v106, v82, v91 dst_sel:DWORD dst_unused:UNUSED_PAD src0_sel:WORD_1 src1_sel:DWORD
	v_add_f16_e32 v97, v111, v97
	v_fma_f16 v111, v110, 0xb9fd, -v112
	v_fmac_f16_e32 v98, 0xbb7b, v26
	v_fmamk_f16 v108, v82, 0xb9fd, v104
	v_fma_f16 v104, v82, 0xb9fd, -v104
	v_fmac_f16_e32 v116, 0xb3a8, v107
	v_add_f16_e32 v94, v114, v94
	v_fmamk_f16 v114, v107, 0xb94e, v117
	v_mul_f16_sdwa v112, v107, v119 dst_sel:DWORD dst_unused:UNUSED_PAD src0_sel:WORD_1 src1_sel:DWORD
	v_add_f16_e32 v96, v111, v96
	v_pk_add_f16 v111, v34, v35 neg_lo:[0,1] neg_hi:[0,1]
	v_fmamk_f16 v109, v26, 0x394e, v106
	v_add_f16_sdwa v98, v25, v98 dst_sel:DWORD dst_unused:UNUSED_PAD src0_sel:WORD_1 src1_sel:DWORD
	v_add_f16_e32 v108, v25, v108
	v_fmac_f16_e32 v106, 0xb94e, v26
	v_add_f16_e32 v104, v25, v104
	v_add_f16_e32 v95, v116, v95
	;; [unrolled: 1-line block ×3, first 2 shown]
	v_fmac_f16_e32 v117, 0x394e, v107
	v_mul_f16_sdwa v114, v110, v87 dst_sel:DWORD dst_unused:UNUSED_PAD src0_sel:WORD_1 src1_sel:DWORD
	v_fmamk_f16 v116, v110, 0x2fb7, v112
	v_pk_add_f16 v34, v35, v34
	v_pk_mul_f16 v35, 0xbbf1, v111 op_sel_hi:[0,1]
	v_fma_f16 v112, v110, 0x2fb7, -v112
	v_add_f16_sdwa v109, v25, v109 dst_sel:DWORD dst_unused:UNUSED_PAD src0_sel:WORD_1 src1_sel:DWORD
	v_add_f16_sdwa v106, v25, v106 dst_sel:DWORD dst_unused:UNUSED_PAD src0_sel:WORD_1 src1_sel:DWORD
	v_add_f16_e32 v98, v117, v98
	v_fmamk_f16 v117, v107, 0xbbf1, v114
	v_add_f16_e32 v108, v116, v108
	v_fmac_f16_e32 v114, 0x3bf1, v107
	v_pk_fma_f16 v116, 0x2fb7, v34, v35 op_sel:[0,0,1] op_sel_hi:[0,1,0]
	v_pk_fma_f16 v35, 0x2fb7, v34, v35 op_sel:[0,0,1] op_sel_hi:[0,1,0] neg_lo:[0,0,1] neg_hi:[0,0,1]
	v_add_f16_e32 v104, v112, v104
	v_mul_f16_sdwa v112, v111, v115 dst_sel:DWORD dst_unused:UNUSED_PAD src0_sel:WORD_1 src1_sel:DWORD
	v_mul_f16_sdwa v115, v34, v113 dst_sel:DWORD dst_unused:UNUSED_PAD src0_sel:WORD_1 src1_sel:DWORD
	v_add_f16_e32 v109, v117, v109
	v_add_f16_e32 v106, v114, v106
	v_bfi_b32 v114, 0xffff, v116, v35
	v_mov_b32_e32 v117, 0x3b7b
	v_fmamk_f16 v120, v34, 0xbbc4, v112
	v_fmamk_f16 v121, v111, 0x33a8, v115
	v_fma_f16 v112, v34, 0xbbc4, -v112
	v_pk_add_f16 v105, v114, v105
	v_mul_f16_sdwa v114, v111, v117 dst_sel:DWORD dst_unused:UNUSED_PAD src0_sel:WORD_1 src1_sel:DWORD
	v_add_f16_e32 v99, v120, v99
	v_add_f16_e32 v100, v121, v100
	v_fmac_f16_e32 v115, 0xb3a8, v111
	v_mul_f16_sdwa v120, v34, v89 dst_sel:DWORD dst_unused:UNUSED_PAD src0_sel:WORD_1 src1_sel:DWORD
	v_mov_b32_e32 v121, 0x3b15
	v_add_f16_e32 v92, v112, v92
	v_fmamk_f16 v112, v34, 0xb5ac, v114
	v_mov_b32_e32 v117, 0x3770
	v_add_f16_e32 v93, v115, v93
	v_fmamk_f16 v115, v111, 0xbb7b, v120
	v_mul_f16_sdwa v122, v34, v121 dst_sel:DWORD dst_unused:UNUSED_PAD src0_sel:WORD_1 src1_sel:DWORD
	v_add_f16_e32 v101, v112, v101
	v_mul_f16_sdwa v112, v111, v117 dst_sel:DWORD dst_unused:UNUSED_PAD src0_sel:WORD_1 src1_sel:DWORD
	v_fma_f16 v114, v34, 0xb5ac, -v114
	v_add_f16_e32 v102, v115, v102
	v_fmamk_f16 v115, v111, 0xb770, v122
	v_fmac_f16_e32 v120, 0x3b7b, v111
	v_fmamk_f16 v123, v34, 0x3b15, v112
	v_add_f16_e32 v94, v114, v94
	v_mul_f16_sdwa v114, v111, v84 dst_sel:DWORD dst_unused:UNUSED_PAD src0_sel:WORD_1 src1_sel:DWORD
	v_add_f16_e32 v103, v115, v103
	v_pk_add_f16 v115, v29, v32 neg_lo:[0,1] neg_hi:[0,1]
	v_add_f16_e32 v95, v120, v95
	v_add_f16_e32 v97, v123, v97
	v_fma_f16 v112, v34, 0x3b15, -v112
	v_fmamk_f16 v120, v34, 0x388b, v114
	v_mul_f16_sdwa v123, v34, v85 dst_sel:DWORD dst_unused:UNUSED_PAD src0_sel:WORD_1 src1_sel:DWORD
	v_pk_add_f16 v29, v32, v29
	v_pk_mul_f16 v32, 0xbb7b, v115 op_sel_hi:[0,1]
	v_fmac_f16_e32 v122, 0x3770, v111
	v_add_f16_e32 v96, v112, v96
	v_add_f16_e32 v108, v120, v108
	v_fmamk_f16 v112, v111, 0x3a95, v123
	v_pk_fma_f16 v120, 0xb5ac, v29, v32 op_sel:[0,0,1] op_sel_hi:[0,1,0]
	v_pk_fma_f16 v32, 0xb5ac, v29, v32 op_sel:[0,0,1] op_sel_hi:[0,1,0] neg_lo:[0,0,1] neg_hi:[0,0,1]
	v_mul_f16_sdwa v118, v115, v118 dst_sel:DWORD dst_unused:UNUSED_PAD src0_sel:WORD_1 src1_sel:DWORD
	v_fma_f16 v114, v34, 0x388b, -v114
	v_add_f16_e32 v98, v122, v98
	v_add_f16_e32 v109, v112, v109
	v_bfi_b32 v112, 0xffff, v120, v32
	v_fmamk_f16 v122, v29, 0xb9fd, v118
	v_add_f16_e32 v104, v114, v104
	v_mul_f16_sdwa v114, v29, v91 dst_sel:DWORD dst_unused:UNUSED_PAD src0_sel:WORD_1 src1_sel:DWORD
	v_fmac_f16_e32 v123, 0xba95, v111
	v_pk_add_f16 v105, v112, v105
	v_add_f16_e32 v99, v122, v99
	v_mul_f16_sdwa v112, v115, v117 dst_sel:DWORD dst_unused:UNUSED_PAD src0_sel:WORD_1 src1_sel:DWORD
	v_fmamk_f16 v122, v115, 0xb94e, v114
	v_fmac_f16_e32 v114, 0x394e, v115
	v_add_f16_e32 v106, v123, v106
	v_mul_f16_sdwa v123, v29, v121 dst_sel:DWORD dst_unused:UNUSED_PAD src0_sel:WORD_1 src1_sel:DWORD
	v_fma_f16 v118, v29, 0xb9fd, -v118
	v_fmamk_f16 v124, v29, 0x3b15, v112
	v_add_f16_e32 v93, v114, v93
	v_mul_f16_sdwa v86, v115, v86 dst_sel:DWORD dst_unused:UNUSED_PAD src0_sel:WORD_1 src1_sel:DWORD
	v_mul_f16_sdwa v114, v29, v87 dst_sel:DWORD dst_unused:UNUSED_PAD src0_sel:WORD_1 src1_sel:DWORD
	v_add_f16_e32 v100, v122, v100
	v_fmamk_f16 v122, v115, 0xb770, v123
	v_add_f16_e32 v92, v118, v92
	v_add_f16_e32 v101, v124, v101
	v_fmamk_f16 v118, v29, 0x2fb7, v86
	v_fmamk_f16 v124, v115, 0x3bf1, v114
	v_add_f16_e32 v102, v122, v102
	v_fma_f16 v112, v29, 0x3b15, -v112
	v_mov_b32_e32 v122, 0x33a8
	v_add_f16_e32 v97, v118, v97
	v_add_f16_e32 v103, v124, v103
	v_fma_f16 v86, v29, 0x2fb7, -v86
	v_pk_add_f16 v118, v30, v31 neg_lo:[0,1] neg_hi:[0,1]
	v_fmac_f16_e32 v114, 0xbbf1, v115
	v_mul_f16_sdwa v124, v29, v113 dst_sel:DWORD dst_unused:UNUSED_PAD src0_sel:WORD_1 src1_sel:DWORD
	v_fmac_f16_e32 v123, 0x3770, v115
	v_add_f16_e32 v94, v112, v94
	v_mul_f16_sdwa v112, v115, v122 dst_sel:DWORD dst_unused:UNUSED_PAD src0_sel:WORD_1 src1_sel:DWORD
	v_pk_add_f16 v30, v31, v30
	v_pk_mul_f16 v31, 0xb94e, v118 op_sel_hi:[0,1]
	v_add_f16_e32 v86, v86, v96
	v_add_f16_e32 v96, v114, v98
	v_fmamk_f16 v98, v115, 0xb3a8, v124
	v_add_f16_e32 v95, v123, v95
	v_fmamk_f16 v123, v29, 0xbbc4, v112
	v_pk_fma_f16 v114, 0xb9fd, v30, v31 op_sel:[0,0,1] op_sel_hi:[0,1,0]
	v_pk_fma_f16 v31, 0xb9fd, v30, v31 op_sel:[0,0,1] op_sel_hi:[0,1,0] neg_lo:[0,0,1] neg_hi:[0,0,1]
	v_fma_f16 v112, v29, 0xbbc4, -v112
	v_add_f16_e32 v98, v98, v109
	v_mul_f16_sdwa v109, v118, v119 dst_sel:DWORD dst_unused:UNUSED_PAD src0_sel:WORD_1 src1_sel:DWORD
	v_mul_f16_sdwa v87, v30, v87 dst_sel:DWORD dst_unused:UNUSED_PAD src0_sel:WORD_1 src1_sel:DWORD
	v_bfi_b32 v119, 0xffff, v114, v31
	v_add_f16_e32 v104, v112, v104
	v_mul_f16_sdwa v84, v118, v84 dst_sel:DWORD dst_unused:UNUSED_PAD src0_sel:WORD_1 src1_sel:DWORD
	v_fmamk_f16 v112, v30, 0x2fb7, v109
	v_fma_f16 v109, v30, 0x2fb7, -v109
	v_pk_add_f16 v105, v119, v105
	v_fmamk_f16 v119, v118, 0xbbf1, v87
	v_fmac_f16_e32 v87, 0x3bf1, v118
	v_add_f16_e32 v99, v112, v99
	v_fmamk_f16 v112, v30, 0x388b, v84
	v_add_f16_e32 v92, v109, v92
	v_mul_f16_sdwa v109, v30, v85 dst_sel:DWORD dst_unused:UNUSED_PAD src0_sel:WORD_1 src1_sel:DWORD
	v_add_f16_e32 v87, v87, v93
	v_add_f16_e32 v100, v119, v100
	;; [unrolled: 1-line block ×3, first 2 shown]
	v_mul_f16_sdwa v101, v118, v122 dst_sel:DWORD dst_unused:UNUSED_PAD src0_sel:WORD_1 src1_sel:DWORD
	v_mul_f16_sdwa v112, v30, v113 dst_sel:DWORD dst_unused:UNUSED_PAD src0_sel:WORD_1 src1_sel:DWORD
	v_fmamk_f16 v113, v118, 0x3a95, v109
	v_fma_f16 v84, v30, 0x388b, -v84
	v_fmac_f16_e32 v109, 0xba95, v118
	v_fmamk_f16 v119, v30, 0xbbc4, v101
	v_fmamk_f16 v122, v118, 0xb3a8, v112
	v_add_f16_e32 v102, v113, v102
	v_add_f16_e32 v84, v84, v94
	;; [unrolled: 1-line block ×5, first 2 shown]
	v_mul_f16_sdwa v103, v118, v117 dst_sel:DWORD dst_unused:UNUSED_PAD src0_sel:WORD_1 src1_sel:DWORD
	v_pk_add_f16 v113, v27, v28 neg_lo:[0,1] neg_hi:[0,1]
	v_fmac_f16_e32 v112, 0x33a8, v118
	v_pk_add_f16 v27, v28, v27
	v_fmac_f16_e32 v124, 0x33a8, v115
	v_mul_f16_sdwa v109, v30, v121 dst_sel:DWORD dst_unused:UNUSED_PAD src0_sel:WORD_1 src1_sel:DWORD
	v_fmamk_f16 v119, v30, 0x3b15, v103
	v_add_f16_e32 v96, v112, v96
	v_mul_f16_sdwa v112, v113, v117 dst_sel:DWORD dst_unused:UNUSED_PAD src0_sel:WORD_1 src1_sel:DWORD
	v_fma_f16 v103, v30, 0x3b15, -v103
	v_mul_f16_sdwa v117, v27, v121 dst_sel:DWORD dst_unused:UNUSED_PAD src0_sel:WORD_1 src1_sel:DWORD
	v_add_f16_e32 v108, v123, v108
	v_add_f16_e32 v106, v124, v106
	v_fma_f16 v101, v30, 0xbbc4, -v101
	v_fmamk_f16 v122, v118, 0xb770, v109
	v_pk_mul_f16 v28, 0xb3a8, v113 op_sel_hi:[0,1]
	v_fmac_f16_e32 v109, 0x3770, v118
	v_add_f16_e32 v103, v103, v104
	v_fmamk_f16 v104, v113, 0xb770, v117
	v_add_f16_e32 v86, v101, v86
	v_add_f16_e32 v101, v119, v108
	v_pk_fma_f16 v108, 0xbbc4, v27, v28 op_sel:[0,0,1] op_sel_hi:[0,1,0]
	v_pk_fma_f16 v28, 0xbbc4, v27, v28 op_sel:[0,0,1] op_sel_hi:[0,1,0] neg_lo:[0,0,1] neg_hi:[0,0,1]
	v_add_f16_e32 v106, v109, v106
	v_mul_f16_sdwa v90, v113, v90 dst_sel:DWORD dst_unused:UNUSED_PAD src0_sel:WORD_1 src1_sel:DWORD
	v_add_f16_e32 v100, v104, v100
	v_fma_f16 v104, v27, 0x3b15, -v112
	v_mov_b32_e32 v109, 0x3a95
	v_mul_f16_sdwa v91, v27, v91 dst_sel:DWORD dst_unused:UNUSED_PAD src0_sel:WORD_1 src1_sel:DWORD
	v_bfi_b32 v119, 0xffff, v108, v28
	v_fmamk_f16 v121, v27, 0x3b15, v112
	v_fmamk_f16 v112, v27, 0xb9fd, v90
	v_add_f16_e32 v92, v104, v92
	v_mul_f16_sdwa v104, v113, v109 dst_sel:DWORD dst_unused:UNUSED_PAD src0_sel:WORD_1 src1_sel:DWORD
	v_fmamk_f16 v109, v113, 0x394e, v91
	v_fma_f16 v90, v27, 0xb9fd, -v90
	v_fmac_f16_e32 v91, 0xb94e, v113
	v_mul_f16_sdwa v85, v27, v85 dst_sel:DWORD dst_unused:UNUSED_PAD src0_sel:WORD_1 src1_sel:DWORD
	v_pk_add_f16 v105, v119, v105
	v_add_f16_e32 v93, v112, v93
	v_fmamk_f16 v112, v27, 0x388b, v104
	v_add_f16_e32 v84, v90, v84
	v_add_f16_e32 v90, v91, v94
	v_fmamk_f16 v94, v113, 0xba95, v85
	v_fmac_f16_e32 v85, 0x3a95, v113
	v_mul_f16_sdwa v89, v27, v89 dst_sel:DWORD dst_unused:UNUSED_PAD src0_sel:WORD_1 src1_sel:DWORD
	v_pk_mul_f16 v82, 0xbbc4, v82 op_sel_hi:[0,1]
	s_barrier
	buffer_gl0_inv
	v_add_f16_e32 v98, v122, v98
	v_add_f16_e32 v91, v112, v95
	v_fma_f16 v95, v27, 0x388b, -v104
	v_mul_f16_sdwa v88, v113, v88 dst_sel:DWORD dst_unused:UNUSED_PAD src0_sel:WORD_1 src1_sel:DWORD
	v_add_f16_e32 v94, v94, v97
	v_add_f16_e32 v85, v85, v96
	v_fmamk_f16 v96, v113, 0x3b7b, v89
	v_pk_fma_f16 v97, 0xb3a8, v26, v82 op_sel:[0,0,1] op_sel_hi:[0,1,0]
	ds_write2_b32 v78, v83, v105 offset1:1
	v_pk_mul_f16 v83, 0x3b15, v110 op_sel_hi:[0,1]
	v_add_f16_e32 v99, v121, v99
	v_add_f16_e32 v102, v109, v102
	;; [unrolled: 1-line block ×3, first 2 shown]
	v_fmamk_f16 v95, v27, 0xb5ac, v88
	v_add_f16_e32 v96, v96, v98
	v_alignbit_b32 v98, s0, v97, 16
	v_pk_fma_f16 v26, 0xb3a8, v26, v82 op_sel:[0,0,1] op_sel_hi:[0,1,0] neg_lo:[0,1,0] neg_hi:[0,1,0]
	v_pk_fma_f16 v82, 0x3770, v107, v83 op_sel:[0,0,1] op_sel_hi:[0,1,0]
	v_pk_mul_f16 v34, 0xb9fd, v34 op_sel_hi:[0,1]
	v_pack_b32_f16 v99, v99, v100
	v_alignbit_b32 v100, s0, v25, 16
	v_add_f16_e32 v95, v95, v101
	v_pack_b32_f16 v93, v93, v102
	v_pk_add_f16 v98, v25, v98
	v_pk_add_f16 v26, v25, v26 op_sel:[1,0] op_sel_hi:[0,1]
	v_alignbit_b32 v101, s0, v82, 16
	v_pk_fma_f16 v83, 0x3770, v107, v83 op_sel:[0,0,1] op_sel_hi:[0,1,0] neg_lo:[0,1,0] neg_hi:[0,1,0]
	v_pk_fma_f16 v102, 0xb94e, v111, v34 op_sel:[0,0,1] op_sel_hi:[0,1,0]
	v_pk_mul_f16 v29, 0x388b, v29 op_sel_hi:[0,1]
	v_pk_add_f16 v97, v100, v97
	v_pk_add_f16 v98, v101, v98
	;; [unrolled: 1-line block ×3, first 2 shown]
	v_alignbit_b32 v83, s0, v102, 16
	v_pk_fma_f16 v34, 0xb94e, v111, v34 op_sel:[0,0,1] op_sel_hi:[0,1,0] neg_lo:[0,1,0] neg_hi:[0,1,0]
	v_pk_fma_f16 v100, 0x3a95, v115, v29 op_sel:[0,0,1] op_sel_hi:[0,1,0]
	v_pk_mul_f16 v30, 0xb5ac, v30 op_sel_hi:[0,1]
	v_pk_add_f16 v82, v82, v97
	v_bfi_b32 v80, 0xffff, v81, v80
	v_pk_add_f16 v83, v83, v98
	v_pk_add_f16 v26, v34, v26
	v_alignbit_b32 v34, s0, v100, 16
	v_pk_fma_f16 v29, 0x3a95, v115, v29 op_sel:[0,0,1] op_sel_hi:[0,1,0] neg_lo:[0,1,0] neg_hi:[0,1,0]
	v_pk_fma_f16 v97, 0xbb7b, v118, v30 op_sel:[0,0,1] op_sel_hi:[0,1,0]
	v_pk_add_f16 v82, v102, v82
	v_pk_add_f16 v25, v25, v80
	v_bfi_b32 v33, 0xffff, v36, v33
	v_fma_f16 v88, v27, 0xb5ac, -v88
	v_pk_add_f16 v34, v34, v83
	v_pk_add_f16 v26, v29, v26
	v_alignbit_b32 v29, s0, v97, 16
	v_pk_mul_f16 v27, 0x2fb7, v27 op_sel_hi:[0,1]
	v_pk_add_f16 v36, v100, v82
	v_pk_fma_f16 v30, 0xbb7b, v118, v30 op_sel:[0,0,1] op_sel_hi:[0,1,0] neg_lo:[0,1,0] neg_hi:[0,1,0]
	v_pk_add_f16 v25, v33, v25
	v_bfi_b32 v33, 0xffff, v35, v116
	v_pk_add_f16 v29, v29, v34
	v_pk_fma_f16 v34, 0x3bf1, v113, v27 op_sel:[0,0,1] op_sel_hi:[0,1,0]
	v_pk_add_f16 v26, v30, v26
	v_pk_add_f16 v30, v97, v36
	v_pk_fma_f16 v27, 0x3bf1, v113, v27 op_sel:[0,0,1] op_sel_hi:[0,1,0] neg_lo:[0,1,0] neg_hi:[0,1,0]
	v_pk_add_f16 v25, v33, v25
	v_bfi_b32 v32, 0xffff, v32, v120
	v_alignbit_b32 v35, s0, v34, 16
	v_fmac_f16_e32 v89, 0xbb7b, v113
	v_fmac_f16_e32 v117, 0x3770, v113
	v_pk_add_f16 v26, v27, v26
	v_pk_add_f16 v27, v34, v30
	;; [unrolled: 1-line block ×3, first 2 shown]
	v_bfi_b32 v30, 0xffff, v31, v114
	v_pk_add_f16 v29, v35, v29
	v_add_f16_e32 v88, v88, v103
	v_add_f16_e32 v89, v89, v106
	;; [unrolled: 1-line block ×3, first 2 shown]
	v_pk_add_f16 v25, v30, v25
	v_bfi_b32 v28, 0xffff, v28, v108
	v_pack_b32_f16 v31, v95, v96
	v_pack_b32_f16 v32, v91, v94
	v_alignbit_b32 v27, v27, v26, 16
	v_pack_b32_f16 v26, v29, v26
	v_pack_b32_f16 v29, v86, v85
	;; [unrolled: 1-line block ×5, first 2 shown]
	v_pk_add_f16 v25, v28, v25
	ds_write2_b32 v78, v99, v93 offset0:2 offset1:3
	ds_write2_b32 v78, v32, v31 offset0:4 offset1:5
	;; [unrolled: 1-line block ×5, first 2 shown]
	ds_write_b32 v78, v25 offset:48
	s_and_saveexec_b32 s0, vcc_lo
	s_cbranch_execz .LBB0_13
; %bb.12:
	v_add_f16_sdwa v83, v60, v57 dst_sel:DWORD dst_unused:UNUSED_PAD src0_sel:WORD_1 src1_sel:DWORD
	v_sub_f16_e32 v29, v18, v54
	v_add_f16_e32 v84, v55, v56
	v_sub_f16_e32 v26, v11, v10
	v_add_f16_e32 v85, v58, v59
	v_mul_f16_e32 v86, 0xbbc4, v83
	v_sub_f16_e32 v27, v12, v9
	v_mul_f16_e32 v88, 0x3b15, v84
	v_add_f16_e32 v87, v61, v62
	v_mul_f16_e32 v90, 0xb9fd, v85
	v_fmamk_f16 v30, v29, 0x33a8, v86
	v_sub_f16_sdwa v91, v57, v60 dst_sel:DWORD dst_unused:UNUSED_PAD src0_sel:DWORD src1_sel:WORD_1
	v_fmamk_f16 v31, v26, 0xb770, v88
	v_sub_f16_e32 v25, v13, v16
	v_mul_f16_e32 v92, 0x388b, v87
	v_add_f16_e32 v32, v79, v30
	v_add_f16_e32 v30, v54, v18
	v_fmamk_f16 v33, v27, 0x394e, v90
	v_mul_f16_e32 v93, 0xb3a8, v91
	v_sub_f16_e32 v94, v56, v55
	v_add_f16_e32 v32, v31, v32
	v_add_f16_e32 v31, v10, v11
	v_fmamk_f16 v34, v25, 0xba95, v92
	v_sub_f16_e32 v96, v59, v58
	v_mul_f16_e32 v95, 0x3770, v94
	v_add_f16_e32 v32, v33, v32
	v_fmamk_f16 v33, v30, 0xbbc4, v93
	v_sub_f16_e32 v99, v62, v61
	v_mul_f16_e32 v98, 0xb94e, v96
	v_fmamk_f16 v35, v31, 0x3b15, v95
	v_add_f16_e32 v34, v34, v32
	v_add_f16_e32 v33, v17, v33
	;; [unrolled: 1-line block ×4, first 2 shown]
	v_mul_f16_e32 v101, 0x3a95, v99
	v_sub_f16_e32 v103, v64, v63
	v_add_f16_e32 v36, v35, v33
	v_fmamk_f16 v80, v32, 0xb9fd, v98
	v_add_f16_e32 v35, v16, v13
	v_sub_f16_e32 v28, v14, v15
	v_mul_f16_e32 v97, 0xb5ac, v89
	v_add_f16_e32 v100, v65, v66
	v_add_f16_e32 v80, v80, v36
	v_fmamk_f16 v81, v35, 0x388b, v101
	v_add_f16_e32 v36, v15, v14
	v_mul_f16_e32 v104, 0xbb7b, v103
	v_mul_f16_e32 v105, 0xb9fd, v83
	v_fmamk_f16 v78, v28, 0x3b7b, v97
	v_mul_f16_e32 v102, 0x2fb7, v100
	v_sub_f16_e32 v33, v60, v22
	v_add_f16_e32 v80, v81, v80
	v_fmamk_f16 v81, v36, 0xb5ac, v104
	v_fmamk_f16 v82, v29, 0x394e, v105
	v_mul_f16_e32 v106, 0x2fb7, v84
	v_add_f16_e32 v34, v78, v34
	v_fmamk_f16 v78, v33, 0xbbf1, v102
	v_add_f16_e32 v80, v81, v80
	v_sub_f16_e32 v107, v66, v65
	v_add_f16_e32 v81, v79, v82
	v_fmamk_f16 v82, v26, 0xbbf1, v106
	v_mul_f16_e32 v108, 0x388b, v85
	v_mul_f16_e32 v110, 0xb94e, v91
	v_add_f16_e32 v34, v78, v34
	v_add_f16_e32 v78, v22, v60
	v_mul_f16_e32 v109, 0x3bf1, v107
	v_add_f16_e32 v81, v82, v81
	v_fmamk_f16 v82, v27, 0x3a95, v108
	v_mul_f16_e32 v111, 0xbbc4, v87
	v_fmamk_f16 v113, v30, 0xb9fd, v110
	v_mul_f16_e32 v114, 0x3bf1, v94
	v_fmamk_f16 v112, v78, 0x2fb7, v109
	v_add_f16_e32 v81, v82, v81
	v_fmamk_f16 v82, v25, 0xb3a8, v111
	v_mul_f16_e32 v115, 0x3b15, v89
	v_add_f16_e32 v113, v17, v113
	v_fmamk_f16 v116, v31, 0x2fb7, v114
	v_mul_f16_e32 v117, 0xba95, v96
	v_add_f16_e32 v81, v82, v81
	v_fmamk_f16 v82, v28, 0xb770, v115
	v_add_f16_e32 v80, v112, v80
	v_add_f16_e32 v112, v116, v113
	v_fmamk_f16 v113, v32, 0x388b, v117
	v_mul_f16_e32 v116, 0x33a8, v99
	v_add_f16_e32 v81, v82, v81
	v_mul_f16_e32 v124, 0xbb7b, v91
	v_mul_f16_e32 v128, 0x394e, v94
	v_add_f16_e32 v82, v113, v112
	v_fmamk_f16 v112, v35, 0xbbc4, v116
	v_mul_f16_e32 v113, 0x3770, v103
	v_fmamk_f16 v127, v30, 0xb5ac, v124
	v_mul_f16_e32 v118, 0xb5ac, v100
	v_mul_f16_e32 v119, 0xb5ac, v83
	v_add_f16_e32 v82, v112, v82
	v_fmamk_f16 v112, v36, 0x3b15, v113
	v_add_f16_e32 v127, v17, v127
	v_fmamk_f16 v130, v31, 0xb9fd, v128
	v_mul_f16_e32 v131, 0x3770, v96
	v_fmamk_f16 v120, v33, 0x3b7b, v118
	v_add_f16_e32 v82, v112, v82
	v_mul_f16_e32 v112, 0xbb7b, v107
	v_fmamk_f16 v121, v29, 0x3b7b, v119
	v_mul_f16_e32 v122, 0xb9fd, v84
	v_add_f16_e32 v81, v120, v81
	v_mul_f16_e32 v123, 0x3b15, v85
	v_fmamk_f16 v126, v78, 0xb5ac, v112
	v_add_f16_e32 v120, v79, v121
	v_fmamk_f16 v121, v26, 0xb94e, v122
	v_mul_f16_e32 v133, 0x33a8, v103
	v_mul_f16_e32 v125, 0x2fb7, v87
	v_add_f16_e32 v82, v126, v82
	v_add_f16_e32 v126, v130, v127
	v_fmamk_f16 v127, v32, 0x3b15, v131
	v_mul_f16_e32 v130, 0xbbf1, v99
	v_add_f16_e32 v120, v121, v120
	v_fmamk_f16 v121, v27, 0xb770, v123
	v_mul_f16_e32 v138, 0xbbf1, v91
	;; [unrolled: 3-line block ×3, first 2 shown]
	v_add_f16_e32 v120, v121, v120
	v_fmamk_f16 v121, v25, 0x3bf1, v125
	v_fmamk_f16 v141, v30, 0x2fb7, v138
	v_add_f16_e32 v126, v127, v126
	v_fmamk_f16 v127, v36, 0xbbc4, v133
	v_mul_f16_e32 v142, 0xb3a8, v94
	v_add_f16_e32 v120, v121, v120
	v_fmamk_f16 v121, v28, 0xb3a8, v129
	v_add_f16_e32 v141, v17, v141
	v_add_f16_e32 v126, v127, v126
	v_mul_f16_e32 v127, 0x3a95, v107
	v_fmamk_f16 v144, v31, 0xbbc4, v142
	v_mul_f16_e32 v145, 0x3b7b, v96
	v_add_f16_e32 v120, v121, v120
	v_mul_f16_e32 v121, 0x388b, v100
	v_fmamk_f16 v140, v78, 0x388b, v127
	v_mul_f16_e32 v132, 0x2fb7, v83
	v_mul_f16_e32 v136, 0xbbc4, v84
	;; [unrolled: 1-line block ×3, first 2 shown]
	v_fmamk_f16 v134, v33, 0xba95, v121
	v_add_f16_e32 v126, v140, v126
	v_add_f16_e32 v140, v144, v141
	v_fmamk_f16 v141, v32, 0xb5ac, v145
	v_mul_f16_e32 v144, 0x3770, v99
	v_fmamk_f16 v135, v29, 0x3bf1, v132
	v_add_f16_e32 v120, v134, v120
	v_mul_f16_e32 v137, 0xb5ac, v85
	v_add_f16_e32 v140, v141, v140
	v_fmamk_f16 v141, v35, 0x3b15, v144
	v_add_f16_e32 v134, v79, v135
	v_fmamk_f16 v135, v26, 0x33a8, v136
	v_mul_f16_e32 v139, 0x3b15, v87
	v_mul_f16_e32 v143, 0x388b, v89
	v_add_f16_e32 v140, v141, v140
	v_fmamk_f16 v141, v36, 0x388b, v147
	v_add_f16_e32 v134, v135, v134
	v_fmamk_f16 v135, v27, 0xbb7b, v137
	v_mul_f16_e32 v155, 0xbb7b, v94
	v_mul_f16_e32 v158, 0xb3a8, v96
	v_add_f16_e32 v140, v141, v140
	v_mul_f16_e32 v141, 0xba95, v91
	v_add_f16_e32 v134, v135, v134
	v_fmamk_f16 v135, v25, 0xb770, v139
	v_fmamk_f16 v157, v31, 0xb5ac, v155
	v_mul_f16_e32 v160, 0x394e, v99
	v_fmamk_f16 v154, v30, 0x388b, v141
	v_mul_f16_e32 v149, 0xb5ac, v84
	v_add_f16_e32 v134, v135, v134
	v_fmamk_f16 v135, v28, 0x3a95, v143
	v_mul_f16_e32 v153, 0xb94e, v107
	v_add_f16_e32 v154, v17, v154
	v_mul_f16_e32 v161, 0x3bf1, v103
	v_mul_f16_e32 v84, 0x388b, v84
	v_add_f16_e32 v134, v135, v134
	v_mul_f16_e32 v135, 0x388b, v83
	v_add_f16_e32 v154, v157, v154
	v_fmamk_f16 v157, v32, 0xbbc4, v158
	v_mul_f16_e32 v83, 0x3b15, v83
	v_add_f16_e32 v18, v18, v17
	v_fmamk_f16 v148, v29, 0x3a95, v135
	v_add_f16_e32 v57, v57, v79
	v_add_f16_e32 v154, v157, v154
	v_fmamk_f16 v157, v35, 0xb9fd, v160
	v_fmamk_f16 v162, v29, 0x3770, v83
	v_add_f16_e32 v148, v79, v148
	v_fmamk_f16 v151, v26, 0x3b7b, v149
	v_mul_f16_e32 v152, 0xbbc4, v85
	v_fmamk_f16 v159, v78, 0xb9fd, v153
	v_add_f16_e32 v154, v157, v154
	v_fmamk_f16 v157, v36, 0x2fb7, v161
	v_add_f16_e32 v162, v79, v162
	v_fmamk_f16 v164, v26, 0x3a95, v84
	v_mul_f16_e32 v85, 0x2fb7, v85
	v_add_f16_e32 v11, v11, v18
	v_add_f16_e32 v56, v56, v57
	;; [unrolled: 1-line block ×3, first 2 shown]
	v_mul_f16_e32 v151, 0xb9fd, v87
	v_add_f16_e32 v140, v159, v140
	v_add_f16_e32 v154, v157, v154
	;; [unrolled: 1-line block ×3, first 2 shown]
	v_fmamk_f16 v159, v27, 0x3bf1, v85
	v_mul_f16_e32 v87, 0xb5ac, v87
	v_add_f16_e32 v11, v12, v11
	v_add_f16_e32 v56, v59, v56
	v_mul_f16_e32 v91, 0xb770, v91
	v_add_f16_e32 v18, v159, v157
	v_fmamk_f16 v57, v25, 0x3b7b, v87
	v_add_f16_e32 v11, v13, v11
	v_add_f16_e32 v56, v62, v56
	v_mul_f16_e32 v13, 0xba95, v94
	v_mul_f16_e32 v62, 0xbbf1, v96
	v_add_f16_e32 v18, v57, v18
	v_fmamk_f16 v57, v30, 0x3b15, v91
	v_add_f16_e32 v11, v14, v11
	v_add_f16_e32 v56, v64, v56
	v_fmamk_f16 v14, v31, 0x388b, v13
	v_fmac_f16_e32 v105, 0xb94e, v29
	v_add_f16_e32 v57, v17, v57
	v_add_f16_e32 v11, v60, v11
	;; [unrolled: 1-line block ×3, first 2 shown]
	v_mul_f16_e32 v66, 0xbb7b, v99
	v_fmac_f16_e32 v119, 0xbb7b, v29
	v_add_f16_e32 v14, v14, v57
	v_fmamk_f16 v57, v32, 0x2fb7, v62
	v_add_f16_e32 v11, v22, v11
	v_add_f16_e32 v22, v65, v56
	v_fmamk_f16 v56, v35, 0xb5ac, v66
	v_fmac_f16_e32 v106, 0x3bf1, v26
	v_add_f16_e32 v14, v57, v14
	v_add_f16_e32 v11, v15, v11
	v_mul_f16_e32 v15, 0xb94e, v103
	v_add_f16_e32 v22, v63, v22
	v_fmac_f16_e32 v122, 0x394e, v26
	v_add_f16_e32 v14, v56, v14
	v_add_f16_e32 v11, v16, v11
	v_fmamk_f16 v16, v36, 0xb9fd, v15
	v_add_f16_e32 v22, v61, v22
	v_mul_f16_e32 v56, 0xb3a8, v107
	v_fmac_f16_e32 v108, 0xba95, v27
	v_add_f16_e32 v9, v9, v11
	v_add_f16_e32 v11, v16, v14
	;; [unrolled: 1-line block ×3, first 2 shown]
	v_fmamk_f16 v16, v78, 0xbbc4, v56
	v_fma_f16 v22, v31, 0x3b15, -v95
	v_add_f16_e32 v9, v10, v9
	v_fma_f16 v58, v31, 0x2fb7, -v114
	v_add_f16_e32 v14, v55, v14
	v_add_f16_e32 v11, v16, v11
	v_fma_f16 v16, v30, 0xbbc4, -v93
	v_fma_f16 v55, v30, 0xb9fd, -v110
	v_add_f16_e32 v9, v54, v9
	v_add_f16_sdwa v14, v60, v14 dst_sel:DWORD dst_unused:UNUSED_PAD src0_sel:WORD_1 src1_sel:DWORD
	v_add_f16_e32 v54, v79, v105
	v_add_f16_e32 v16, v17, v16
	;; [unrolled: 1-line block ×4, first 2 shown]
	v_fmac_f16_e32 v123, 0x3770, v27
	v_add_f16_e32 v54, v106, v54
	v_add_f16_e32 v16, v22, v16
	v_fma_f16 v22, v32, 0xb9fd, -v98
	v_add_f16_e32 v55, v58, v55
	v_fma_f16 v58, v32, 0x388b, -v117
	v_add_f16_e32 v60, v122, v60
	v_add_f16_e32 v54, v108, v54
	;; [unrolled: 1-line block ×3, first 2 shown]
	v_fma_f16 v22, v35, 0x388b, -v101
	v_fmac_f16_e32 v111, 0x33a8, v25
	v_add_f16_e32 v55, v58, v55
	v_fma_f16 v58, v35, 0xbbc4, -v116
	v_add_f16_e32 v60, v123, v60
	v_fmac_f16_e32 v125, 0xbbf1, v25
	v_mul_f16_e32 v59, 0xb9fd, v89
	v_add_f16_e32 v16, v22, v16
	v_fma_f16 v22, v36, 0xb5ac, -v104
	v_add_f16_e32 v54, v111, v54
	v_fmac_f16_e32 v115, 0x3770, v28
	v_add_f16_e32 v55, v58, v55
	v_fma_f16 v58, v36, 0x3b15, -v113
	v_add_f16_e32 v60, v125, v60
	v_fmac_f16_e32 v129, 0x33a8, v28
	v_mul_f16_e32 v146, 0xb9fd, v100
	v_fmamk_f16 v64, v28, 0x394e, v59
	v_mul_f16_e32 v57, 0xbbc4, v100
	v_add_f16_e32 v16, v22, v16
	v_fma_f16 v22, v78, 0x2fb7, -v109
	v_add_f16_e32 v54, v115, v54
	v_fmac_f16_e32 v118, 0xbb7b, v33
	v_add_f16_e32 v55, v58, v55
	v_fma_f16 v58, v78, 0xb5ac, -v112
	v_add_f16_e32 v60, v129, v60
	v_fmac_f16_e32 v121, 0x3a95, v33
	v_fmamk_f16 v150, v33, 0x394e, v146
	v_add_f16_e32 v18, v64, v18
	v_fmamk_f16 v61, v33, 0x33a8, v57
	v_add_f16_e32 v16, v22, v16
	v_add_f16_e32 v22, v118, v54
	v_fma_f16 v54, v30, 0xb5ac, -v124
	v_add_f16_e32 v55, v58, v55
	v_add_f16_e32 v58, v121, v60
	v_fma_f16 v60, v30, 0x2fb7, -v138
	v_fmac_f16_e32 v135, 0xba95, v29
	v_add_f16_e32 v134, v150, v134
	v_fmamk_f16 v150, v27, 0x33a8, v152
	v_add_f16_e32 v10, v61, v18
	v_add_f16_e32 v54, v17, v54
	v_fma_f16 v61, v31, 0xb9fd, -v128
	v_add_f16_e32 v60, v17, v60
	v_fma_f16 v63, v31, 0xbbc4, -v142
	v_add_f16_e32 v64, v79, v135
	v_fmac_f16_e32 v149, 0xbb7b, v26
	v_add_f16_e32 v148, v150, v148
	v_fmamk_f16 v150, v25, 0xb94e, v151
	v_mul_f16_e32 v156, 0x2fb7, v89
	v_add_f16_e32 v54, v61, v54
	v_fma_f16 v61, v32, 0x3b15, -v131
	v_add_f16_e32 v60, v63, v60
	v_fma_f16 v63, v32, 0xb5ac, -v145
	v_add_f16_e32 v64, v149, v64
	v_fmac_f16_e32 v152, 0xb3a8, v27
	v_add_f16_e32 v148, v150, v148
	v_fmamk_f16 v150, v28, 0xbbf1, v156
	v_add_f16_e32 v54, v61, v54
	v_fma_f16 v61, v35, 0x2fb7, -v130
	v_add_f16_e32 v60, v63, v60
	v_fma_f16 v63, v35, 0x3b15, -v144
	v_add_f16_e32 v64, v152, v64
	v_fmac_f16_e32 v151, 0x394e, v25
	v_add_f16_e32 v148, v150, v148
	v_mul_f16_e32 v150, 0x3b15, v100
	v_add_f16_e32 v54, v61, v54
	v_fma_f16 v61, v36, 0xbbc4, -v133
	v_add_f16_e32 v60, v63, v60
	v_fma_f16 v63, v36, 0x388b, -v147
	v_add_f16_e32 v64, v151, v64
	v_fmac_f16_e32 v156, 0x3bf1, v28
	v_fmac_f16_e32 v86, 0xb3a8, v29
	v_fmamk_f16 v163, v33, 0xb770, v150
	v_add_f16_e32 v54, v61, v54
	v_fma_f16 v61, v78, 0x388b, -v127
	v_fmac_f16_e32 v132, 0xbbf1, v29
	v_add_f16_e32 v60, v63, v60
	v_fma_f16 v63, v78, 0xb9fd, -v153
	v_add_f16_e32 v64, v156, v64
	v_fmac_f16_e32 v150, 0x3770, v33
	v_fma_f16 v65, v30, 0x388b, -v141
	v_fmac_f16_e32 v83, 0xb770, v29
	v_fma_f16 v30, v30, 0x3b15, -v91
	v_add_f16_e32 v18, v79, v86
	v_fmac_f16_e32 v88, 0x3770, v26
	v_add_f16_e32 v54, v61, v54
	v_add_f16_e32 v61, v79, v132
	v_fmac_f16_e32 v136, 0xb3a8, v26
	v_add_f16_e32 v60, v63, v60
	v_add_f16_e32 v29, v150, v64
	;; [unrolled: 1-line block ×3, first 2 shown]
	v_fma_f16 v64, v31, 0xb5ac, -v155
	v_add_f16_e32 v65, v79, v83
	v_fmac_f16_e32 v84, 0xba95, v26
	v_add_f16_e32 v17, v17, v30
	v_fma_f16 v13, v31, 0x388b, -v13
	v_add_f16_e32 v18, v88, v18
	v_fmac_f16_e32 v90, 0xb94e, v27
	v_add_f16_e32 v61, v136, v61
	v_fmac_f16_e32 v137, 0x3b7b, v27
	v_add_f16_e32 v26, v64, v63
	v_fma_f16 v30, v32, 0xbbc4, -v158
	v_add_f16_e32 v31, v84, v65
	v_fmac_f16_e32 v85, 0xbbf1, v27
	v_add_f16_e32 v13, v13, v17
	v_fma_f16 v17, v32, 0x2fb7, -v62
	v_mul_f16_e32 v162, 0x3770, v107
	v_add_f16_e32 v18, v90, v18
	v_fmac_f16_e32 v92, 0x3a95, v25
	v_add_f16_e32 v61, v137, v61
	v_fmac_f16_e32 v139, 0x3770, v25
	v_add_f16_e32 v26, v30, v26
	v_fma_f16 v27, v35, 0xb9fd, -v160
	v_add_f16_e32 v30, v85, v31
	v_fmac_f16_e32 v87, 0xbb7b, v25
	v_add_f16_e32 v13, v17, v13
	v_fma_f16 v17, v35, 0xb5ac, -v66
	v_fmamk_f16 v12, v78, 0x3b15, v162
	v_add_f16_e32 v18, v92, v18
	v_fmac_f16_e32 v97, 0xbb7b, v28
	v_add_f16_e32 v61, v139, v61
	v_fmac_f16_e32 v143, 0xba95, v28
	v_add_f16_e32 v25, v27, v26
	v_fma_f16 v26, v36, 0x2fb7, -v161
	v_add_f16_e32 v27, v87, v30
	v_fmac_f16_e32 v59, 0xb94e, v28
	v_add_f16_e32 v13, v17, v13
	v_fma_f16 v15, v36, 0xb9fd, -v15
	v_add_f16_e32 v148, v163, v148
	v_add_f16_e32 v12, v12, v154
	;; [unrolled: 1-line block ×3, first 2 shown]
	v_fmac_f16_e32 v102, 0x3bf1, v33
	v_add_f16_e32 v61, v143, v61
	v_fmac_f16_e32 v146, 0xb94e, v33
	v_add_f16_e32 v17, v26, v25
	v_fma_f16 v25, v78, 0x3b15, -v162
	v_add_f16_e32 v26, v59, v27
	v_fmac_f16_e32 v57, 0xb3a8, v33
	v_add_f16_e32 v13, v15, v13
	v_fma_f16 v15, v78, 0xbbc4, -v56
	v_pack_b32_f16 v10, v11, v10
	v_pack_b32_f16 v9, v9, v14
	v_add_f16_e32 v18, v102, v18
	v_pack_b32_f16 v11, v140, v134
	v_pack_b32_f16 v12, v12, v148
	v_add_f16_e32 v61, v146, v61
	v_add_f16_e32 v14, v25, v17
	;; [unrolled: 1-line block ×4, first 2 shown]
	ds_write2_b32 v37, v9, v10 offset0:169 offset1:170
	ds_write2_b32 v37, v12, v11 offset0:171 offset1:172
	v_pack_b32_f16 v9, v82, v81
	v_pack_b32_f16 v10, v126, v120
	;; [unrolled: 1-line block ×9, first 2 shown]
	ds_write2_b32 v37, v10, v9 offset0:173 offset1:174
	ds_write2_b32 v37, v12, v11 offset0:175 offset1:176
	;; [unrolled: 1-line block ×4, first 2 shown]
	ds_write_b32 v37, v13 offset:724
.LBB0_13:
	s_or_b32 exec_lo, exec_lo, s0
	s_waitcnt lgkmcnt(0)
	s_barrier
	buffer_gl0_inv
	ds_read2_b32 v[9:10], v40 offset1:13
	ds_read2_b32 v[11:12], v40 offset0:78 offset1:91
	ds_read2_b32 v[13:14], v40 offset0:104 offset1:117
	;; [unrolled: 1-line block ×6, first 2 shown]
	s_waitcnt lgkmcnt(0)
	s_barrier
	buffer_gl0_inv
	s_mov_b32 s4, 0x16816817
	s_mov_b32 s5, 0x3f768168
	s_mul_hi_u32 s3, s8, 56
	v_lshrrev_b32_e32 v22, 16, v9
	v_lshrrev_b32_e32 v29, 16, v12
	;; [unrolled: 1-line block ×5, first 2 shown]
	v_mul_f16_sdwa v58, v67, v12 dst_sel:DWORD dst_unused:UNUSED_PAD src0_sel:WORD_1 src1_sel:DWORD
	v_mul_f16_sdwa v59, v67, v29 dst_sel:DWORD dst_unused:UNUSED_PAD src0_sel:WORD_1 src1_sel:DWORD
	;; [unrolled: 1-line block ×3, first 2 shown]
	v_lshrrev_b32_e32 v35, 16, v17
	v_mul_f16_sdwa v62, v67, v13 dst_sel:DWORD dst_unused:UNUSED_PAD src0_sel:WORD_1 src1_sel:DWORD
	v_lshrrev_b32_e32 v61, 16, v28
	v_fmac_f16_e32 v59, v67, v12
	v_mul_f16_sdwa v12, v72, v33 dst_sel:DWORD dst_unused:UNUSED_PAD src0_sel:WORD_1 src1_sel:DWORD
	v_fmac_f16_e32 v60, v67, v13
	v_mul_f16_sdwa v13, v72, v14 dst_sel:DWORD dst_unused:UNUSED_PAD src0_sel:WORD_1 src1_sel:DWORD
	v_lshrrev_b32_e32 v56, 16, v27
	v_fma_f16 v29, v67, v29, -v58
	v_fmac_f16_e32 v12, v72, v14
	v_mul_f16_sdwa v14, v70, v54 dst_sel:DWORD dst_unused:UNUSED_PAD src0_sel:WORD_1 src1_sel:DWORD
	v_mul_f16_sdwa v58, v71, v35 dst_sel:DWORD dst_unused:UNUSED_PAD src0_sel:WORD_1 src1_sel:DWORD
	v_fma_f16 v31, v67, v31, -v62
	v_mul_f16_sdwa v62, v71, v17 dst_sel:DWORD dst_unused:UNUSED_PAD src0_sel:WORD_1 src1_sel:DWORD
	v_fma_f16 v13, v72, v33, -v13
	v_mul_f16_sdwa v33, v70, v18 dst_sel:DWORD dst_unused:UNUSED_PAD src0_sel:WORD_1 src1_sel:DWORD
	v_fmac_f16_e32 v14, v70, v18
	v_mul_f16_sdwa v18, v68, v61 dst_sel:DWORD dst_unused:UNUSED_PAD src0_sel:WORD_1 src1_sel:DWORD
	v_lshrrev_b32_e32 v30, 16, v10
	v_fmac_f16_e32 v58, v71, v17
	v_fma_f16 v17, v71, v35, -v62
	v_mul_f16_sdwa v35, v69, v56 dst_sel:DWORD dst_unused:UNUSED_PAD src0_sel:WORD_1 src1_sel:DWORD
	v_mul_f16_sdwa v62, v69, v27 dst_sel:DWORD dst_unused:UNUSED_PAD src0_sel:WORD_1 src1_sel:DWORD
	v_fma_f16 v33, v70, v54, -v33
	v_mul_f16_sdwa v54, v68, v28 dst_sel:DWORD dst_unused:UNUSED_PAD src0_sel:WORD_1 src1_sel:DWORD
	v_lshrrev_b32_e32 v32, 16, v15
	v_fmac_f16_e32 v18, v68, v28
	v_sub_f16_e32 v28, v9, v59
	v_sub_f16_e32 v29, v22, v29
	v_lshrrev_b32_e32 v34, 16, v16
	v_fmac_f16_e32 v35, v69, v27
	v_fma_f16 v27, v69, v56, -v62
	v_sub_f16_e32 v56, v10, v60
	v_sub_f16_e32 v31, v30, v31
	v_lshrrev_b32_e32 v36, 16, v25
	v_lshrrev_b32_e32 v55, 16, v26
	;; [unrolled: 1-line block ×3, first 2 shown]
	v_fma_f16 v54, v68, v61, -v54
	v_fma_f16 v9, v9, 2.0, -v28
	v_fma_f16 v22, v22, 2.0, -v29
	v_sub_f16_e32 v12, v15, v12
	v_sub_f16_e32 v13, v32, v13
	v_fma_f16 v10, v10, 2.0, -v56
	v_fma_f16 v30, v30, 2.0, -v31
	v_sub_f16_e32 v58, v16, v58
	v_sub_f16_e32 v17, v34, v17
	;; [unrolled: 1-line block ×8, first 2 shown]
	v_fma_f16 v15, v15, 2.0, -v12
	v_fma_f16 v32, v32, 2.0, -v13
	v_pack_b32_f16 v9, v9, v22
	v_pack_b32_f16 v22, v28, v29
	v_fma_f16 v16, v16, 2.0, -v58
	v_fma_f16 v34, v34, 2.0, -v17
	v_pack_b32_f16 v10, v10, v30
	v_pack_b32_f16 v28, v56, v31
	v_fma_f16 v25, v25, 2.0, -v14
	v_fma_f16 v36, v36, 2.0, -v33
	;; [unrolled: 1-line block ×6, first 2 shown]
	ds_write2_b32 v40, v9, v22 offset1:13
	ds_write2_b32 v40, v10, v28 offset0:26 offset1:39
	v_pack_b32_f16 v9, v15, v32
	v_pack_b32_f16 v10, v12, v13
	;; [unrolled: 1-line block ×10, first 2 shown]
	ds_write2_b32 v73, v9, v10 offset0:52 offset1:65
	ds_write2_b32 v74, v12, v13 offset0:78 offset1:91
	;; [unrolled: 1-line block ×5, first 2 shown]
	s_waitcnt lgkmcnt(0)
	s_barrier
	buffer_gl0_inv
	ds_read2_b32 v[9:10], v40 offset0:26 offset1:39
	ds_read2_b32 v[11:12], v40 offset0:52 offset1:65
	;; [unrolled: 1-line block ×6, first 2 shown]
	ds_read2_b32 v[27:28], v40 offset1:13
	s_waitcnt lgkmcnt(6)
	v_lshrrev_b32_e32 v22, 16, v9
	s_waitcnt lgkmcnt(5)
	v_lshrrev_b32_e32 v29, 16, v11
	;; [unrolled: 2-line block ×5, first 2 shown]
	v_mul_f16_sdwa v56, v4, v22 dst_sel:DWORD dst_unused:UNUSED_PAD src0_sel:WORD_1 src1_sel:DWORD
	v_mul_f16_sdwa v57, v4, v9 dst_sel:DWORD dst_unused:UNUSED_PAD src0_sel:WORD_1 src1_sel:DWORD
	;; [unrolled: 1-line block ×4, first 2 shown]
	s_waitcnt lgkmcnt(1)
	v_lshrrev_b32_e32 v33, 16, v25
	v_lshrrev_b32_e32 v34, 16, v10
	v_fmac_f16_e32 v56, v4, v9
	v_fma_f16 v4, v4, v22, -v57
	v_fmac_f16_e32 v58, v5, v11
	v_fma_f16 v5, v5, v29, -v59
	v_mul_f16_sdwa v9, v6, v30 dst_sel:DWORD dst_unused:UNUSED_PAD src0_sel:WORD_1 src1_sel:DWORD
	v_mul_f16_sdwa v11, v6, v13 dst_sel:DWORD dst_unused:UNUSED_PAD src0_sel:WORD_1 src1_sel:DWORD
	;; [unrolled: 1-line block ×5, first 2 shown]
	v_lshrrev_b32_e32 v35, 16, v12
	v_lshrrev_b32_e32 v36, 16, v14
	;; [unrolled: 1-line block ×3, first 2 shown]
	v_fmac_f16_e32 v9, v6, v13
	v_fma_f16 v6, v6, v30, -v11
	v_fmac_f16_e32 v22, v7, v15
	v_fma_f16 v7, v7, v31, -v29
	v_fmac_f16_e32 v57, v23, v17
	v_mul_f16_sdwa v11, v23, v17 dst_sel:DWORD dst_unused:UNUSED_PAD src0_sel:WORD_1 src1_sel:DWORD
	v_mul_f16_sdwa v13, v24, v33 dst_sel:DWORD dst_unused:UNUSED_PAD src0_sel:WORD_1 src1_sel:DWORD
	;; [unrolled: 1-line block ×5, first 2 shown]
	v_lshrrev_b32_e32 v55, 16, v18
	v_lshrrev_b32_e32 v60, 16, v26
	v_fma_f16 v11, v23, v32, -v11
	v_fmac_f16_e32 v13, v24, v25
	v_fma_f16 v15, v24, v33, -v15
	v_fmac_f16_e32 v17, v0, v10
	v_fma_f16 v0, v0, v34, -v29
	v_mul_f16_sdwa v10, v1, v35 dst_sel:DWORD dst_unused:UNUSED_PAD src0_sel:WORD_1 src1_sel:DWORD
	v_mul_f16_sdwa v23, v1, v12 dst_sel:DWORD dst_unused:UNUSED_PAD src0_sel:WORD_1 src1_sel:DWORD
	;; [unrolled: 1-line block ×5, first 2 shown]
	v_fmac_f16_e32 v10, v1, v12
	v_fma_f16 v1, v1, v35, -v23
	v_fmac_f16_e32 v24, v2, v14
	v_fma_f16 v2, v2, v36, -v25
	v_fmac_f16_e32 v29, v3, v16
	v_mul_f16_sdwa v12, v3, v16 dst_sel:DWORD dst_unused:UNUSED_PAD src0_sel:WORD_1 src1_sel:DWORD
	v_mul_f16_sdwa v14, v19, v55 dst_sel:DWORD dst_unused:UNUSED_PAD src0_sel:WORD_1 src1_sel:DWORD
	;; [unrolled: 1-line block ×5, first 2 shown]
	v_fma_f16 v3, v3, v54, -v12
	v_fmac_f16_e32 v14, v19, v18
	v_fma_f16 v12, v19, v55, -v16
	v_fmac_f16_e32 v23, v20, v26
	v_fma_f16 v16, v20, v60, -v25
	v_add_f16_e32 v18, v56, v13
	v_add_f16_e32 v19, v4, v15
	v_sub_f16_e32 v4, v4, v15
	v_add_f16_e32 v15, v58, v57
	v_add_f16_e32 v20, v5, v11
	v_sub_f16_e32 v13, v56, v13
	v_sub_f16_e32 v25, v58, v57
	;; [unrolled: 1-line block ×3, first 2 shown]
	v_add_f16_e32 v11, v9, v22
	v_add_f16_e32 v26, v6, v7
	v_sub_f16_e32 v9, v22, v9
	v_sub_f16_e32 v6, v7, v6
	v_add_f16_e32 v7, v15, v18
	v_add_f16_e32 v22, v20, v19
	v_sub_f16_e32 v30, v15, v18
	v_sub_f16_e32 v31, v20, v19
	;; [unrolled: 1-line block ×6, first 2 shown]
	v_add_f16_e32 v32, v9, v25
	v_add_f16_e32 v33, v6, v5
	v_sub_f16_e32 v34, v9, v25
	v_sub_f16_e32 v35, v6, v5
	;; [unrolled: 1-line block ×3, first 2 shown]
	v_add_f16_e32 v7, v11, v7
	v_add_f16_e32 v11, v26, v22
	v_sub_f16_e32 v5, v5, v4
	v_sub_f16_e32 v9, v13, v9
	;; [unrolled: 1-line block ×3, first 2 shown]
	v_add_f16_e32 v13, v32, v13
	v_add_f16_e32 v4, v33, v4
	s_waitcnt lgkmcnt(0)
	v_add_f16_e32 v22, v27, v7
	v_add_f16_sdwa v26, v27, v11 dst_sel:DWORD dst_unused:UNUSED_PAD src0_sel:WORD_1 src1_sel:DWORD
	v_mul_f16_e32 v18, 0x3a52, v18
	v_mul_f16_e32 v19, 0x3a52, v19
	;; [unrolled: 1-line block ×8, first 2 shown]
	v_fmamk_f16 v7, v7, 0xbcab, v22
	v_fmamk_f16 v11, v11, 0xbcab, v26
	;; [unrolled: 1-line block ×4, first 2 shown]
	v_fma_f16 v27, v30, 0x39e0, -v27
	v_fma_f16 v32, v31, 0x39e0, -v32
	;; [unrolled: 1-line block ×4, first 2 shown]
	v_fmamk_f16 v30, v9, 0xb574, v33
	v_fmamk_f16 v31, v6, 0xb574, v34
	v_fma_f16 v9, v9, 0x3574, -v35
	v_fma_f16 v6, v6, 0x3574, -v36
	;; [unrolled: 1-line block ×4, first 2 shown]
	v_add_f16_e32 v15, v15, v7
	v_add_f16_e32 v20, v20, v11
	;; [unrolled: 1-line block ×6, first 2 shown]
	v_fmac_f16_e32 v30, 0xb70e, v13
	v_fmac_f16_e32 v31, 0xb70e, v4
	;; [unrolled: 1-line block ×6, first 2 shown]
	v_add_f16_e32 v4, v31, v15
	v_sub_f16_e32 v13, v20, v30
	v_add_f16_e32 v18, v6, v7
	v_sub_f16_e32 v19, v11, v9
	v_sub_f16_e32 v6, v7, v6
	v_add_f16_e32 v7, v9, v11
	v_sub_f16_e32 v9, v15, v31
	v_add_f16_e32 v11, v30, v20
	v_add_f16_e32 v15, v17, v23
	;; [unrolled: 1-line block ×3, first 2 shown]
	v_sub_f16_e32 v17, v17, v23
	v_sub_f16_e32 v0, v0, v16
	v_add_f16_e32 v16, v10, v14
	v_add_f16_e32 v23, v1, v12
	v_sub_f16_e32 v33, v27, v5
	v_add_f16_e32 v5, v5, v27
	v_sub_f16_e32 v10, v10, v14
	v_sub_f16_e32 v1, v1, v12
	v_add_f16_e32 v12, v24, v29
	v_add_f16_e32 v14, v2, v3
	v_sub_f16_e32 v24, v29, v24
	v_sub_f16_e32 v2, v3, v2
	v_add_f16_e32 v3, v16, v15
	v_add_f16_e32 v27, v23, v20
	;; [unrolled: 1-line block ×3, first 2 shown]
	v_sub_f16_e32 v25, v32, v25
	v_sub_f16_e32 v29, v16, v15
	;; [unrolled: 1-line block ×7, first 2 shown]
	v_add_f16_e32 v31, v24, v10
	v_add_f16_e32 v32, v2, v1
	v_sub_f16_e32 v35, v24, v10
	v_sub_f16_e32 v36, v2, v1
	;; [unrolled: 1-line block ×3, first 2 shown]
	v_add_f16_e32 v3, v12, v3
	v_add_f16_e32 v12, v14, v27
	v_sub_f16_e32 v1, v1, v0
	v_sub_f16_e32 v24, v17, v24
	;; [unrolled: 1-line block ×3, first 2 shown]
	v_add_f16_e32 v14, v31, v17
	v_add_f16_e32 v0, v32, v0
	;; [unrolled: 1-line block ×3, first 2 shown]
	v_add_f16_sdwa v27, v28, v12 dst_sel:DWORD dst_unused:UNUSED_PAD src0_sel:WORD_1 src1_sel:DWORD
	v_mul_f16_e32 v15, 0x3a52, v15
	v_mul_f16_e32 v20, 0x3a52, v20
	;; [unrolled: 1-line block ×8, first 2 shown]
	v_fmamk_f16 v3, v3, 0xbcab, v17
	v_fmamk_f16 v12, v12, 0xbcab, v27
	;; [unrolled: 1-line block ×4, first 2 shown]
	v_fma_f16 v28, v29, 0x39e0, -v28
	v_fma_f16 v31, v30, 0x39e0, -v31
	;; [unrolled: 1-line block ×4, first 2 shown]
	v_fmamk_f16 v29, v24, 0xb574, v32
	v_fmamk_f16 v30, v2, 0xb574, v35
	v_fma_f16 v24, v24, 0x3574, -v36
	v_fma_f16 v2, v2, 0x3574, -v54
	;; [unrolled: 1-line block ×4, first 2 shown]
	v_add_f16_e32 v16, v16, v3
	v_add_f16_e32 v23, v23, v12
	;; [unrolled: 1-line block ×6, first 2 shown]
	v_fmac_f16_e32 v2, 0xb70e, v0
	v_fmac_f16_e32 v24, 0xb70e, v14
	;; [unrolled: 1-line block ×6, first 2 shown]
	v_add_f16_e32 v15, v2, v3
	v_sub_f16_e32 v20, v12, v24
	v_sub_f16_e32 v2, v3, v2
	v_add_f16_e32 v3, v24, v12
	v_pack_b32_f16 v4, v4, v13
	v_pack_b32_f16 v12, v18, v19
	;; [unrolled: 1-line block ×4, first 2 shown]
	v_add_f16_e32 v0, v30, v16
	v_sub_f16_e32 v14, v23, v29
	v_sub_f16_e32 v32, v28, v1
	v_add_f16_e32 v35, v10, v31
	v_add_f16_e32 v1, v1, v28
	v_sub_f16_e32 v10, v31, v10
	v_sub_f16_e32 v16, v16, v30
	v_add_f16_e32 v18, v29, v23
	ds_write2_b32 v40, v4, v12 offset0:26 offset1:52
	ds_write2_b32 v40, v13, v5 offset0:78 offset1:104
	v_pack_b32_f16 v4, v6, v7
	v_pack_b32_f16 v5, v9, v11
	;; [unrolled: 1-line block ×10, first 2 shown]
	ds_write2_b32 v40, v4, v5 offset0:130 offset1:156
	ds_write2_b32 v40, v19, v6 offset1:13
	ds_write2_b32 v21, v0, v7 offset0:26 offset1:52
	ds_write2_b32 v21, v9, v1 offset0:78 offset1:104
	;; [unrolled: 1-line block ×3, first 2 shown]
	s_waitcnt lgkmcnt(0)
	s_barrier
	buffer_gl0_inv
	ds_read2_b32 v[0:1], v40 offset1:14
	s_waitcnt lgkmcnt(0)
	v_lshrrev_b32_e32 v4, 16, v0
	v_lshrrev_b32_e32 v13, 16, v1
	v_mul_f16_sdwa v2, v53, v4 dst_sel:DWORD dst_unused:UNUSED_PAD src0_sel:WORD_1 src1_sel:DWORD
	v_fmac_f16_e32 v2, v53, v0
	v_mul_f16_sdwa v0, v53, v0 dst_sel:DWORD dst_unused:UNUSED_PAD src0_sel:WORD_1 src1_sel:DWORD
	v_cvt_f32_f16_e32 v2, v2
	v_fma_f16 v0, v53, v4, -v0
	v_cvt_f64_f32_e32 v[2:3], v2
	v_cvt_f32_f16_e32 v0, v0
	v_cvt_f64_f32_e32 v[4:5], v0
	v_mul_f64 v[2:3], v[2:3], s[4:5]
	v_mul_f64 v[4:5], v[4:5], s[4:5]
	v_and_or_b32 v0, 0x1ff, v3, v2
	v_lshrrev_b32_e32 v2, 8, v3
	v_bfe_u32 v6, v3, 20, 11
	v_cmp_ne_u32_e64 s0, 0, v0
	v_lshrrev_b32_e32 v7, 8, v5
	v_bfe_u32 v12, v5, 20, 11
	v_cndmask_b32_e64 v0, 0, 1, s0
	v_and_or_b32 v11, 0xffe, v2, v0
	v_sub_nc_u32_e32 v0, 0x3f1, v6
	v_and_or_b32 v2, 0x1ff, v5, v4
	v_lshrrev_b32_e32 v5, 16, v5
	v_or_b32_e32 v4, 0x1000, v11
	v_med3_i32 v0, v0, 0, 13
	v_cmp_ne_u32_e64 s0, 0, v2
	v_lshrrev_b32_e32 v9, v0, v4
	v_cndmask_b32_e64 v2, 0, 1, s0
	v_lshlrev_b32_e32 v0, v0, v9
	v_and_or_b32 v14, 0xffe, v7, v2
	v_sub_nc_u32_e32 v2, 0x3f1, v12
	v_mul_f16_sdwa v7, v52, v13 dst_sel:DWORD dst_unused:UNUSED_PAD src0_sel:WORD_1 src1_sel:DWORD
	v_add_nc_u32_e32 v12, 0xfffffc10, v12
	v_cmp_ne_u32_e64 s0, v0, v4
	v_or_b32_e32 v15, 0x1000, v14
	v_med3_i32 v2, v2, 0, 13
	v_fmac_f16_e32 v7, v52, v1
	v_add_nc_u32_e32 v4, 0xfffffc10, v6
	v_cndmask_b32_e64 v0, 0, 1, s0
	v_mul_f16_sdwa v1, v52, v1 dst_sel:DWORD dst_unused:UNUSED_PAD src0_sel:WORD_1 src1_sel:DWORD
	v_lshrrev_b32_e32 v16, v2, v15
	v_cvt_f32_f16_e32 v10, v7
	v_lshl_or_b32 v17, v4, 12, v11
	v_or_b32_e32 v0, v9, v0
	v_cmp_gt_i32_e64 s0, 1, v4
	v_lshlrev_b32_e32 v2, v2, v16
	v_cvt_f64_f32_e32 v[9:10], v10
	v_mad_u64_u32 v[6:7], null, s10, v8, 0
	v_cndmask_b32_e64 v17, v17, v0, s0
	v_cmp_ne_u32_e64 s0, v2, v15
	v_lshl_or_b32 v15, v12, 12, v14
	v_fma_f16 v13, v52, v13, -v1
	v_cmp_gt_i32_e64 s2, 31, v4
	s_mul_i32 s10, s8, 56
	v_cndmask_b32_e64 v2, 0, 1, s0
	v_mov_b32_e32 v0, v7
	v_and_b32_e32 v7, 7, v17
	v_cmp_gt_i32_e64 s0, 1, v12
	v_or_b32_e32 v2, v16, v2
	v_mad_u64_u32 v[0:1], null, s11, v8, v[0:1]
	v_cmp_eq_u32_e64 s1, 3, v7
	v_cvt_f32_f16_e32 v8, v13
	v_cndmask_b32_e64 v15, v15, v2, s0
	v_cmp_lt_i32_e64 s0, 5, v7
	v_lshrrev_b32_e32 v13, 2, v17
	v_mul_f64 v[1:2], v[9:10], s[4:5]
	v_cvt_f64_f32_e32 v[7:8], v8
	v_and_b32_e32 v16, 7, v15
	s_or_b32 s0, s1, s0
	v_add_co_ci_u32_e64 v9, s0, 0, v13, s0
	v_cmp_ne_u32_e64 s0, 0, v11
	v_cmp_eq_u32_e64 s1, 3, v16
	v_lshrrev_b32_e32 v11, 2, v15
	v_cndmask_b32_e64 v9, 0x7c00, v9, s2
	v_cndmask_b32_e64 v10, 0, 1, s0
	v_cmp_lt_i32_e64 s0, 5, v16
	v_lshl_or_b32 v10, v10, 9, 0x7c00
	s_or_b32 s0, s1, s0
	v_add_co_ci_u32_e64 v11, s0, 0, v11, s0
	v_cmp_ne_u32_e64 s0, 0, v14
	v_and_or_b32 v1, 0x1ff, v2, v1
	v_lshrrev_b32_e32 v15, 8, v2
	v_bfe_u32 v16, v2, 20, 11
	v_lshrrev_b32_e32 v2, 16, v2
	v_cndmask_b32_e64 v13, 0, 1, s0
	v_cmp_eq_u32_e64 s0, 0x40f, v4
	v_cndmask_b32_e64 v14, v9, v10, s0
	v_cmp_gt_i32_e64 s0, 31, v12
	v_lshl_or_b32 v10, v13, 9, 0x7c00
	v_mul_f64 v[8:9], v[7:8], s[4:5]
	v_lshrrev_b32_e32 v13, 16, v3
	v_mov_b32_e32 v7, v0
	v_cndmask_b32_e64 v4, 0x7c00, v11, s0
	v_cmp_eq_u32_e64 s0, 0x40f, v12
	v_and_or_b32 v13, 0x8000, v13, v14
	v_cndmask_b32_e64 v12, v4, v10, s0
	ds_read2_b32 v[3:4], v40 offset0:28 offset1:42
	v_cmp_ne_u32_e64 s0, 0, v1
	v_mad_u64_u32 v[10:11], null, s8, v50, 0
	v_and_or_b32 v5, 0x8000, v5, v12
	v_and_b32_e32 v21, 0xffff, v13
	v_cndmask_b32_e64 v1, 0, 1, s0
	v_mov_b32_e32 v0, v11
	v_and_or_b32 v14, 0xffe, v15, v1
	v_sub_nc_u32_e32 v1, 0x3f1, v16
	v_and_or_b32 v8, 0x1ff, v9, v8
	v_lshrrev_b32_e32 v17, 8, v9
	v_bfe_u32 v19, v9, 20, 11
	v_or_b32_e32 v12, 0x1000, v14
	v_med3_i32 v11, v1, 0, 13
	v_mad_u64_u32 v[0:1], null, s9, v50, v[0:1]
	s_waitcnt lgkmcnt(0)
	v_lshrrev_b32_e32 v15, 16, v3
	v_cmp_ne_u32_e64 s0, 0, v8
	v_lshrrev_b32_e32 v1, v11, v12
	v_add_nc_u32_e32 v16, 0xfffffc10, v16
	v_lshl_or_b32 v21, v5, 16, v21
	v_mul_f16_sdwa v18, v51, v15 dst_sel:DWORD dst_unused:UNUSED_PAD src0_sel:WORD_1 src1_sel:DWORD
	v_cndmask_b32_e64 v8, 0, 1, s0
	v_lshlrev_b32_e32 v20, v11, v1
	v_mov_b32_e32 v11, v0
	v_sub_nc_u32_e32 v0, 0x3f1, v19
	v_fmac_f16_e32 v18, v51, v3
	v_and_or_b32 v17, 0xffe, v17, v8
	v_cmp_ne_u32_e64 s0, v20, v12
	v_lshl_or_b32 v22, v16, 12, v14
	v_med3_i32 v20, v0, 0, 13
	v_cvt_f32_f16_e32 v12, v18
	v_or_b32_e32 v18, 0x1000, v17
	v_cndmask_b32_e64 v8, 0, 1, s0
	v_cmp_gt_i32_e64 s0, 1, v16
	v_mul_f16_sdwa v3, v51, v3 dst_sel:DWORD dst_unused:UNUSED_PAD src0_sel:WORD_1 src1_sel:DWORD
	v_cvt_f64_f32_e32 v[12:13], v12
	v_lshrrev_b32_e32 v23, v20, v18
	v_or_b32_e32 v8, v1, v8
	v_lshlrev_b64 v[0:1], 2, v[6:7]
	v_fma_f16 v3, v51, v15, -v3
	v_lshrrev_b32_e32 v9, 16, v9
	v_lshlrev_b32_e32 v5, v20, v23
	v_cndmask_b32_e64 v22, v22, v8, s0
	v_add_co_u32 v0, s0, s12, v0
	v_add_co_ci_u32_e64 v1, s0, s13, v1, s0
	v_cmp_ne_u32_e64 s0, v5, v18
	v_add_nc_u32_e32 v18, 0xfffffc10, v19
	v_lshlrev_b64 v[5:6], 2, v[10:11]
	v_and_b32_e32 v20, 7, v22
	v_cvt_f32_f16_e32 v3, v3
	v_cndmask_b32_e64 v7, 0, 1, s0
	v_lshl_or_b32 v11, v18, 12, v17
	v_cmp_gt_i32_e64 s2, 1, v18
	v_cmp_lt_i32_e64 s0, 5, v20
	v_cmp_eq_u32_e64 s1, 3, v20
	v_or_b32_e32 v10, v23, v7
	v_mul_f64 v[7:8], v[12:13], s[4:5]
	v_lshrrev_b32_e32 v12, 2, v22
	s_or_b32 s0, s1, s0
	v_cndmask_b32_e64 v13, v11, v10, s2
	v_cvt_f64_f32_e32 v[10:11], v3
	v_add_co_u32 v5, s2, v0, v5
	v_add_co_ci_u32_e64 v12, s0, 0, v12, s0
	v_and_b32_e32 v3, 7, v13
	v_cmp_ne_u32_e64 s0, 0, v14
	v_add_co_ci_u32_e64 v6, s2, v1, v6, s2
	v_cmp_gt_i32_e64 s2, 31, v16
	v_cmp_eq_u32_e64 s1, 3, v3
	v_cndmask_b32_e64 v14, 0, 1, s0
	v_cmp_lt_i32_e64 s0, 5, v3
	global_store_dword v[5:6], v21, off
	v_cndmask_b32_e64 v3, 0x7c00, v12, s2
	v_lshrrev_b32_e32 v12, 2, v13
	v_lshl_or_b32 v13, v14, 9, 0x7c00
	v_and_or_b32 v7, 0x1ff, v8, v7
	s_or_b32 s0, s1, s0
	v_lshrrev_b32_e32 v14, 8, v8
	v_add_co_ci_u32_e64 v12, s0, 0, v12, s0
	v_cmp_ne_u32_e64 s0, 0, v7
	v_bfe_u32 v15, v8, 20, 11
	v_mul_f64 v[10:11], v[10:11], s[4:5]
	v_lshrrev_b32_e32 v22, 16, v8
	v_cndmask_b32_e64 v7, 0, 1, s0
	v_cmp_ne_u32_e64 s0, 0, v17
	v_and_or_b32 v7, 0xffe, v14, v7
	v_cndmask_b32_e64 v17, 0, 1, s0
	v_sub_nc_u32_e32 v14, 0x3f1, v15
	v_cmp_gt_i32_e64 s0, 31, v18
	v_add_nc_u32_e32 v15, 0xfffffc10, v15
	v_or_b32_e32 v19, 0x1000, v7
	v_lshl_or_b32 v17, v17, 9, 0x7c00
	v_med3_i32 v14, v14, 0, 13
	v_cndmask_b32_e64 v12, 0x7c00, v12, s0
	v_cmp_eq_u32_e64 s0, 0x40f, v16
	v_lshrrev_b32_e32 v16, 16, v4
	v_cndmask_b32_e64 v3, v3, v13, s0
	v_lshrrev_b32_e32 v13, v14, v19
	v_cmp_eq_u32_e64 s0, 0x40f, v18
	v_and_or_b32 v10, 0x1ff, v11, v10
	v_and_or_b32 v2, 0x8000, v2, v3
	v_lshlrev_b32_e32 v3, v14, v13
	v_cndmask_b32_e64 v12, v12, v17, s0
	v_bfe_u32 v17, v11, 20, 11
	v_and_b32_e32 v14, 0xffff, v2
	v_cmp_ne_u32_e64 s0, v3, v19
	v_and_or_b32 v9, 0x8000, v9, v12
	v_mul_f16_sdwa v12, v49, v16 dst_sel:DWORD dst_unused:UNUSED_PAD src0_sel:WORD_1 src1_sel:DWORD
	v_cndmask_b32_e64 v2, 0, 1, s0
	v_cmp_ne_u32_e64 s0, 0, v10
	v_fmac_f16_e32 v12, v49, v4
	v_lshrrev_b32_e32 v10, 8, v11
	v_lshl_or_b32 v14, v9, 16, v14
	v_or_b32_e32 v13, v13, v2
	v_cndmask_b32_e64 v3, 0, 1, s0
	v_cvt_f32_f16_e32 v12, v12
	v_cmp_gt_i32_e64 s0, 1, v15
	v_mul_f16_sdwa v4, v49, v4 dst_sel:DWORD dst_unused:UNUSED_PAD src0_sel:WORD_1 src1_sel:DWORD
	v_lshrrev_b32_e32 v11, 16, v11
	v_and_or_b32 v18, 0xffe, v10, v3
	v_sub_nc_u32_e32 v10, 0x3f1, v17
	v_cvt_f64_f32_e32 v[2:3], v12
	v_lshl_or_b32 v12, v15, 12, v7
	v_fma_f16 v4, v49, v16, -v4
	v_or_b32_e32 v9, 0x1000, v18
	v_med3_i32 v10, v10, 0, 13
	v_add_nc_u32_e32 v17, 0xfffffc10, v17
	v_cndmask_b32_e64 v12, v12, v13, s0
	s_mul_i32 s0, s9, 56
	v_cvt_f32_f16_e32 v4, v4
	v_lshrrev_b32_e32 v13, v10, v9
	s_add_i32 s3, s3, s0
	v_and_b32_e32 v19, 7, v12
	v_lshrrev_b32_e32 v12, 2, v12
	v_lshlrev_b32_e32 v10, v10, v13
	v_cmp_lt_i32_e64 s0, 5, v19
	v_cmp_eq_u32_e64 s1, 3, v19
	v_cmp_ne_u32_e64 s2, v10, v9
	v_cvt_f64_f32_e32 v[9:10], v4
	s_or_b32 s0, s1, s0
	v_mul_f64 v[2:3], v[2:3], s[4:5]
	v_add_co_ci_u32_e64 v19, s0, 0, v12, s0
	v_cndmask_b32_e64 v16, 0, 1, s2
	v_cmp_ne_u32_e64 s0, 0, v7
	v_or_b32_e32 v4, v13, v16
	v_lshl_or_b32 v16, v17, 12, v18
	v_cndmask_b32_e64 v7, 0, 1, s0
	v_cmp_gt_i32_e64 s0, 1, v17
	ds_read2_b32 v[12:13], v40 offset0:56 offset1:70
	v_lshl_or_b32 v7, v7, 9, 0x7c00
	v_cndmask_b32_e64 v16, v16, v4, s0
	v_add_co_u32 v4, s0, v5, s10
	v_add_co_ci_u32_e64 v5, s0, s3, v6, s0
	v_cmp_gt_i32_e64 s0, 31, v15
	v_and_or_b32 v2, 0x1ff, v3, v2
	global_store_dword v[4:5], v14, off
	v_cndmask_b32_e64 v6, 0x7c00, v19, s0
	v_cmp_eq_u32_e64 s0, 0x40f, v15
	v_and_b32_e32 v19, 7, v16
	v_cmp_ne_u32_e64 s1, 0, v2
	v_lshrrev_b32_e32 v16, 2, v16
	v_cndmask_b32_e64 v14, v6, v7, s0
	v_mul_f64 v[6:7], v[9:10], s[4:5]
	v_cmp_lt_i32_e64 s0, 5, v19
	v_cndmask_b32_e64 v2, 0, 1, s1
	v_cmp_eq_u32_e64 s1, 3, v19
	v_lshrrev_b32_e32 v9, 8, v3
	v_bfe_u32 v10, v3, 20, 11
	s_waitcnt lgkmcnt(0)
	v_lshrrev_b32_e32 v15, 16, v12
	v_and_or_b32 v14, 0x8000, v22, v14
	s_or_b32 s0, s1, s0
	v_and_or_b32 v2, 0xffe, v9, v2
	v_add_co_ci_u32_e64 v16, s0, 0, v16, s0
	v_sub_nc_u32_e32 v9, 0x3f1, v10
	v_mul_f16_sdwa v19, v48, v15 dst_sel:DWORD dst_unused:UNUSED_PAD src0_sel:WORD_1 src1_sel:DWORD
	v_cmp_gt_i32_e64 s0, 31, v17
	v_or_b32_e32 v20, 0x1000, v2
	v_lshrrev_b32_e32 v3, 16, v3
	v_med3_i32 v21, v9, 0, 13
	v_fmac_f16_e32 v19, v48, v12
	v_cndmask_b32_e64 v16, 0x7c00, v16, s0
	v_cmp_ne_u32_e64 s0, 0, v18
	v_mul_f16_sdwa v12, v48, v12 dst_sel:DWORD dst_unused:UNUSED_PAD src0_sel:WORD_1 src1_sel:DWORD
	v_and_or_b32 v6, 0x1ff, v7, v6
	v_cvt_f32_f16_e32 v8, v19
	v_lshrrev_b32_e32 v19, v21, v20
	v_cndmask_b32_e64 v18, 0, 1, s0
	v_lshrrev_b32_e32 v23, 8, v7
	v_cmp_ne_u32_e64 s0, 0, v6
	v_bfe_u32 v24, v7, 20, 11
	v_lshlrev_b32_e32 v21, v21, v19
	v_cvt_f64_f32_e32 v[8:9], v8
	v_lshl_or_b32 v18, v18, 9, 0x7c00
	v_cndmask_b32_e64 v6, 0, 1, s0
	v_lshrrev_b32_e32 v22, 16, v13
	v_cmp_ne_u32_e64 s0, v21, v20
	v_add_nc_u32_e32 v21, 0xfffffc10, v10
	v_sub_nc_u32_e32 v10, 0x3f1, v24
	v_and_or_b32 v6, 0xffe, v23, v6
	v_lshrrev_b32_e32 v7, 16, v7
	v_cndmask_b32_e64 v20, 0, 1, s0
	v_cmp_eq_u32_e64 s0, 0x40f, v17
	v_med3_i32 v10, v10, 0, 13
	v_or_b32_e32 v23, 0x1000, v6
	v_cmp_eq_u32_e64 s2, 0x40f, v21
	v_or_b32_e32 v19, v19, v20
	v_lshl_or_b32 v20, v21, 12, v2
	v_cndmask_b32_e64 v16, v16, v18, s0
	v_cmp_gt_i32_e64 s0, 1, v21
	v_lshrrev_b32_e32 v18, v10, v23
	v_and_or_b32 v16, 0x8000, v11, v16
	v_cndmask_b32_e64 v17, v20, v19, s0
	v_lshlrev_b32_e32 v10, v10, v18
	v_mul_f64 v[8:9], v[8:9], s[4:5]
	v_fma_f16 v11, v48, v15, -v12
	v_and_b32_e32 v12, 0xffff, v14
	v_and_b32_e32 v19, 7, v17
	v_cmp_ne_u32_e64 s1, v10, v23
	v_lshrrev_b32_e32 v15, 2, v17
	v_add_nc_u32_e32 v14, 0xfffffc10, v24
	v_cvt_f32_f16_e32 v11, v11
	v_cmp_lt_i32_e64 s0, 5, v19
	v_cndmask_b32_e64 v10, 0, 1, s1
	v_cmp_eq_u32_e64 s1, 3, v19
	v_lshl_or_b32 v16, v16, 16, v12
	v_or_b32_e32 v17, v18, v10
	s_or_b32 s0, s1, s0
	v_lshl_or_b32 v18, v14, 12, v6
	v_add_co_ci_u32_e64 v15, s0, 0, v15, s0
	v_cmp_gt_i32_e64 s0, 1, v14
	v_cvt_f64_f32_e32 v[10:11], v11
	v_and_or_b32 v8, 0x1ff, v9, v8
	v_lshrrev_b32_e32 v19, 8, v9
	v_cndmask_b32_e64 v17, v18, v17, s0
	v_cmp_gt_i32_e64 s0, 31, v21
	v_bfe_u32 v20, v9, 20, 11
	v_and_b32_e32 v18, 7, v17
	v_cndmask_b32_e64 v15, 0x7c00, v15, s0
	v_cmp_ne_u32_e64 s0, 0, v2
	v_cmp_eq_u32_e64 s1, 3, v18
	v_cndmask_b32_e64 v2, 0, 1, s0
	v_cmp_ne_u32_e64 s0, 0, v8
	v_lshl_or_b32 v2, v2, 9, 0x7c00
	v_cndmask_b32_e64 v8, 0, 1, s0
	v_cmp_lt_i32_e64 s0, 5, v18
	v_sub_nc_u32_e32 v18, 0x3f1, v20
	v_mul_f64 v[10:11], v[10:11], s[4:5]
	v_cndmask_b32_e64 v2, v15, v2, s2
	v_lshrrev_b32_e32 v15, 2, v17
	v_and_or_b32 v8, 0xffe, v19, v8
	s_or_b32 s0, s1, s0
	v_med3_i32 v18, v18, 0, 13
	v_and_or_b32 v21, 0x8000, v3, v2
	v_add_co_ci_u32_e64 v15, s0, 0, v15, s0
	v_or_b32_e32 v17, 0x1000, v8
	v_cmp_ne_u32_e64 s0, 0, v6
	v_mul_f16_sdwa v3, v47, v22 dst_sel:DWORD dst_unused:UNUSED_PAD src0_sel:WORD_1 src1_sel:DWORD
	v_lshrrev_b32_e32 v19, v18, v17
	v_cndmask_b32_e64 v6, 0, 1, s0
	v_cmp_gt_i32_e64 s0, 31, v14
	v_fmac_f16_e32 v3, v47, v13
	v_mul_f16_sdwa v13, v47, v13 dst_sel:DWORD dst_unused:UNUSED_PAD src0_sel:WORD_1 src1_sel:DWORD
	v_lshlrev_b32_e32 v2, v18, v19
	v_lshl_or_b32 v6, v6, 9, 0x7c00
	v_cndmask_b32_e64 v15, 0x7c00, v15, s0
	v_cmp_eq_u32_e64 s0, 0x40f, v14
	v_and_or_b32 v10, 0x1ff, v11, v10
	v_cvt_f32_f16_e32 v3, v3
	v_add_nc_u32_e32 v14, 0xfffffc10, v20
	v_cndmask_b32_e64 v6, v15, v6, s0
	v_cmp_ne_u32_e64 s0, v2, v17
	v_lshrrev_b32_e32 v15, 8, v11
	v_bfe_u32 v17, v11, 20, 11
	v_and_or_b32 v6, 0x8000, v7, v6
	v_cndmask_b32_e64 v2, 0, 1, s0
	v_cmp_ne_u32_e64 s0, 0, v10
	v_and_b32_e32 v7, 0xffff, v21
	v_or_b32_e32 v18, v19, v2
	v_cvt_f64_f32_e32 v[2:3], v3
	v_cndmask_b32_e64 v10, 0, 1, s0
	v_lshl_or_b32 v19, v14, 12, v8
	v_cmp_gt_i32_e64 s0, 1, v14
	v_lshl_or_b32 v21, v6, 16, v7
	v_fma_f16 v6, v47, v22, -v13
	v_and_or_b32 v10, 0xffe, v15, v10
	v_sub_nc_u32_e32 v15, 0x3f1, v17
	v_cndmask_b32_e64 v18, v19, v18, s0
	v_add_co_u32 v4, s0, v4, s10
	v_or_b32_e32 v19, 0x1000, v10
	v_med3_i32 v15, v15, 0, 13
	v_and_b32_e32 v12, 7, v18
	v_add_co_ci_u32_e64 v5, s0, s3, v5, s0
	v_cvt_f32_f16_e32 v6, v6
	v_lshrrev_b32_e32 v20, v15, v19
	v_cmp_lt_i32_e64 s0, 5, v12
	v_cmp_eq_u32_e64 s1, 3, v12
	v_lshrrev_b32_e32 v12, 2, v18
	v_mul_f64 v[2:3], v[2:3], s[4:5]
	v_lshlrev_b32_e32 v7, v15, v20
	s_or_b32 s0, s1, s0
	v_add_nc_u32_e32 v15, 0xfffffc10, v17
	v_add_co_ci_u32_e64 v12, s0, 0, v12, s0
	v_cmp_ne_u32_e64 s2, v7, v19
	v_cvt_f64_f32_e32 v[6:7], v6
	v_cmp_ne_u32_e64 s0, 0, v8
	v_lshl_or_b32 v17, v15, 12, v10
	v_cndmask_b32_e64 v13, 0, 1, s2
	v_cndmask_b32_e64 v8, 0, 1, s0
	v_cmp_gt_i32_e64 s0, 31, v14
	v_or_b32_e32 v13, v20, v13
	v_lshl_or_b32 v8, v8, 9, 0x7c00
	v_cndmask_b32_e64 v18, 0x7c00, v12, s0
	v_cmp_gt_i32_e64 s0, 1, v15
	v_and_or_b32 v2, 0x1ff, v3, v2
	v_lshrrev_b32_e32 v20, 8, v3
	v_bfe_u32 v22, v3, 20, 11
	v_cndmask_b32_e64 v17, v17, v13, s0
	v_add_co_u32 v12, s0, v4, s10
	v_add_co_ci_u32_e64 v13, s0, s3, v5, s0
	v_and_b32_e32 v19, 7, v17
	v_cmp_eq_u32_e64 s0, 0x40f, v14
	v_cmp_ne_u32_e64 s1, 0, v2
	v_mul_f64 v[6:7], v[6:7], s[4:5]
	v_lshrrev_b32_e32 v17, 2, v17
	v_cndmask_b32_e64 v14, v18, v8, s0
	v_cmp_lt_i32_e64 s0, 5, v19
	v_cndmask_b32_e64 v2, 0, 1, s1
	v_cmp_eq_u32_e64 s1, 3, v19
	v_lshrrev_b32_e32 v18, 16, v9
	ds_read2_b32 v[8:9], v40 offset0:84 offset1:98
	v_sub_nc_u32_e32 v19, 0x3f1, v22
	v_and_or_b32 v2, 0xffe, v20, v2
	s_or_b32 s0, s1, s0
	v_and_or_b32 v14, 0x8000, v18, v14
	v_add_co_ci_u32_e64 v17, s0, 0, v17, s0
	v_cmp_ne_u32_e64 s0, 0, v10
	v_or_b32_e32 v20, 0x1000, v2
	v_med3_i32 v19, v19, 0, 13
	global_store_dword v[4:5], v16, off
	global_store_dword v[12:13], v21, off
	v_and_b32_e32 v14, 0xffff, v14
	v_cndmask_b32_e64 v10, 0, 1, s0
	v_cmp_gt_i32_e64 s0, 31, v15
	v_lshrrev_b32_e32 v18, v19, v20
	v_and_or_b32 v6, 0x1ff, v7, v6
	v_bfe_u32 v24, v7, 20, 11
	v_lshl_or_b32 v10, v10, 9, 0x7c00
	v_cndmask_b32_e64 v17, 0x7c00, v17, s0
	v_cmp_eq_u32_e64 s0, 0x40f, v15
	s_waitcnt lgkmcnt(0)
	v_lshrrev_b32_e32 v23, 16, v8
	v_mul_f16_sdwa v5, v46, v8 dst_sel:DWORD dst_unused:UNUSED_PAD src0_sel:WORD_1 src1_sel:DWORD
	v_cndmask_b32_e64 v15, v17, v10, s0
	v_lshlrev_b32_e32 v10, v19, v18
	v_cmp_ne_u32_e64 s0, 0, v6
	v_lshrrev_b32_e32 v17, 16, v11
	v_lshrrev_b32_e32 v11, 8, v7
	v_mul_f16_sdwa v19, v46, v23 dst_sel:DWORD dst_unused:UNUSED_PAD src0_sel:WORD_1 src1_sel:DWORD
	v_fma_f16 v5, v46, v23, -v5
	v_cndmask_b32_e64 v6, 0, 1, s0
	v_cmp_ne_u32_e64 s0, v10, v20
	v_add_nc_u32_e32 v20, 0xfffffc10, v22
	v_fmac_f16_e32 v19, v46, v8
	v_and_or_b32 v15, 0x8000, v17, v15
	v_and_or_b32 v6, 0xffe, v11, v6
	v_cndmask_b32_e64 v10, 0, 1, s0
	v_sub_nc_u32_e32 v11, 0x3f1, v24
	v_cvt_f32_f16_e32 v19, v19
	v_cmp_gt_i32_e64 s0, 1, v20
	v_or_b32_e32 v22, 0x1000, v6
	v_or_b32_e32 v10, v18, v10
	v_lshl_or_b32 v18, v20, 12, v2
	v_med3_i32 v25, v11, 0, 13
	v_lshl_or_b32 v14, v15, 16, v14
	v_add_nc_u32_e32 v15, 0xfffffc10, v24
	v_lshrrev_b32_e32 v7, 16, v7
	v_cndmask_b32_e64 v18, v18, v10, s0
	v_cvt_f64_f32_e32 v[10:11], v19
	v_lshrrev_b32_e32 v17, v25, v22
	v_and_b32_e32 v19, 7, v18
	v_lshrrev_b32_e32 v8, 2, v18
	v_lshlrev_b32_e32 v4, v25, v17
	v_lshl_or_b32 v18, v15, 12, v6
	v_cmp_lt_i32_e64 s0, 5, v19
	v_cmp_eq_u32_e64 s1, 3, v19
	v_cmp_ne_u32_e64 s2, v4, v22
	s_or_b32 s0, s1, s0
	v_cndmask_b32_e64 v4, 0, 1, s2
	v_add_co_ci_u32_e64 v8, s0, 0, v8, s0
	v_cmp_ne_u32_e64 s0, 0, v2
	v_cmp_eq_u32_e64 s2, 0x40f, v20
	v_or_b32_e32 v16, v17, v4
	v_cvt_f32_f16_e32 v17, v5
	v_mul_f64 v[4:5], v[10:11], s[4:5]
	v_cndmask_b32_e64 v2, 0, 1, s0
	v_cmp_gt_i32_e64 s0, 1, v15
	v_cvt_f64_f32_e32 v[10:11], v17
	v_lshl_or_b32 v2, v2, 9, 0x7c00
	v_cndmask_b32_e64 v16, v18, v16, s0
	v_add_co_u32 v12, s0, v12, s10
	v_add_co_ci_u32_e64 v13, s0, s3, v13, s0
	v_cmp_gt_i32_e64 s0, 31, v20
	v_and_b32_e32 v17, 7, v16
	global_store_dword v[12:13], v14, off
	v_lshrrev_b32_e32 v14, 16, v3
	v_cndmask_b32_e64 v8, 0x7c00, v8, s0
	v_cmp_lt_i32_e64 s0, 5, v17
	v_cmp_eq_u32_e64 s1, 3, v17
	v_lshrrev_b32_e32 v17, 16, v9
	v_cndmask_b32_e64 v8, v8, v2, s2
	v_lshrrev_b32_e32 v2, 2, v16
	v_and_or_b32 v4, 0x1ff, v5, v4
	s_or_b32 s0, s1, s0
	v_mul_f16_sdwa v18, v45, v17 dst_sel:DWORD dst_unused:UNUSED_PAD src0_sel:WORD_1 src1_sel:DWORD
	v_and_or_b32 v8, 0x8000, v14, v8
	v_add_co_ci_u32_e64 v16, s0, 0, v2, s0
	v_mul_f64 v[2:3], v[10:11], s[4:5]
	v_cmp_ne_u32_e64 s0, 0, v4
	v_lshrrev_b32_e32 v10, 8, v5
	v_bfe_u32 v11, v5, 20, 11
	v_fmac_f16_e32 v18, v45, v9
	v_mul_f16_sdwa v9, v45, v9 dst_sel:DWORD dst_unused:UNUSED_PAD src0_sel:WORD_1 src1_sel:DWORD
	v_cndmask_b32_e64 v4, 0, 1, s0
	v_cmp_ne_u32_e64 s0, 0, v6
	v_lshrrev_b32_e32 v5, 16, v5
	v_fma_f16 v9, v45, v17, -v9
	v_and_or_b32 v4, 0xffe, v10, v4
	v_cndmask_b32_e64 v6, 0, 1, s0
	v_sub_nc_u32_e32 v10, 0x3f1, v11
	v_cmp_gt_i32_e64 s0, 31, v15
	v_and_b32_e32 v17, 0xffff, v8
	v_or_b32_e32 v19, 0x1000, v4
	v_lshl_or_b32 v6, v6, 9, 0x7c00
	v_med3_i32 v10, v10, 0, 13
	v_cndmask_b32_e64 v16, 0x7c00, v16, s0
	v_cmp_eq_u32_e64 s0, 0x40f, v15
	v_cvt_f32_f16_e32 v15, v18
	v_and_or_b32 v2, 0x1ff, v3, v2
	v_bfe_u32 v18, v3, 20, 11
	v_cvt_f32_f16_e32 v8, v9
	v_cndmask_b32_e64 v6, v16, v6, s0
	v_lshrrev_b32_e32 v16, v10, v19
	v_cmp_ne_u32_e64 s0, 0, v2
	v_cvt_f64_f32_e32 v[8:9], v8
	v_and_or_b32 v14, 0x8000, v7, v6
	v_lshlrev_b32_e32 v10, v10, v16
	v_cvt_f64_f32_e32 v[6:7], v15
	v_cndmask_b32_e64 v2, 0, 1, s0
	v_lshrrev_b32_e32 v15, 8, v3
	v_lshl_or_b32 v14, v14, 16, v17
	v_cmp_ne_u32_e64 s0, v10, v19
	v_add_nc_u32_e32 v19, 0xfffffc10, v11
	v_sub_nc_u32_e32 v11, 0x3f1, v18
	v_and_or_b32 v2, 0xffe, v15, v2
	v_cndmask_b32_e64 v10, 0, 1, s0
	v_lshl_or_b32 v15, v19, 12, v4
	v_cmp_gt_i32_e64 s0, 1, v19
	v_med3_i32 v11, v11, 0, 13
	v_or_b32_e32 v10, v16, v10
	v_or_b32_e32 v16, 0x1000, v2
	v_cndmask_b32_e64 v15, v15, v10, s0
	v_lshrrev_b32_e32 v20, v11, v16
	v_add_co_u32 v10, s0, v12, s10
	v_mul_f64 v[6:7], v[6:7], s[4:5]
	v_and_b32_e32 v17, 7, v15
	v_lshlrev_b32_e32 v21, v11, v20
	v_add_co_ci_u32_e64 v11, s0, s3, v13, s0
	v_lshrrev_b32_e32 v12, 2, v15
	v_cmp_lt_i32_e64 s0, 5, v17
	v_cmp_eq_u32_e64 s1, 3, v17
	v_cmp_ne_u32_e64 s2, v21, v16
	v_add_nc_u32_e32 v15, 0xfffffc10, v18
	v_mul_f64 v[8:9], v[8:9], s[4:5]
	global_store_dword v[10:11], v14, off
	s_or_b32 s0, s1, s0
	v_cndmask_b32_e64 v13, 0, 1, s2
	v_add_co_ci_u32_e64 v16, s0, 0, v12, s0
	v_cmp_ne_u32_e64 s0, 0, v4
	v_lshl_or_b32 v18, v15, 12, v2
	v_or_b32_e32 v17, v20, v13
	ds_read2_b32 v[12:13], v40 offset0:112 offset1:126
	v_cndmask_b32_e64 v4, 0, 1, s0
	v_cmp_gt_i32_e64 s0, 31, v19
	v_and_or_b32 v6, 0x1ff, v7, v6
	v_bfe_u32 v20, v7, 20, 11
	v_lshl_or_b32 v4, v4, 9, 0x7c00
	v_cndmask_b32_e64 v16, 0x7c00, v16, s0
	v_cmp_gt_i32_e64 s0, 1, v15
	v_lshrrev_b32_e32 v21, 8, v9
	v_cndmask_b32_e64 v17, v18, v17, s0
	v_cmp_ne_u32_e64 s0, 0, v6
	v_lshrrev_b32_e32 v18, 8, v7
	v_bfe_u32 v22, v9, 20, 11
	v_lshrrev_b32_e32 v7, 16, v7
	v_cndmask_b32_e64 v6, 0, 1, s0
	v_cmp_eq_u32_e64 s0, 0x40f, v19
	v_and_or_b32 v6, 0xffe, v18, v6
	v_cndmask_b32_e64 v4, v16, v4, s0
	v_sub_nc_u32_e32 v18, 0x3f1, v20
	v_and_b32_e32 v16, 7, v17
	v_add_nc_u32_e32 v20, 0xfffffc10, v20
	v_or_b32_e32 v19, 0x1000, v6
	v_and_or_b32 v14, 0x8000, v5, v4
	v_med3_i32 v4, v18, 0, 13
	v_and_or_b32 v5, 0x1ff, v9, v8
	v_cmp_lt_i32_e64 s0, 5, v16
	v_cmp_eq_u32_e64 s1, 3, v16
	s_waitcnt lgkmcnt(0)
	v_lshrrev_b32_e32 v18, 16, v12
	v_lshrrev_b32_e32 v8, 2, v17
	;; [unrolled: 1-line block ×3, first 2 shown]
	v_cmp_ne_u32_e64 s2, 0, v5
	s_or_b32 s0, s1, s0
	v_mul_f16_sdwa v17, v44, v18 dst_sel:DWORD dst_unused:UNUSED_PAD src0_sel:WORD_1 src1_sel:DWORD
	v_add_co_ci_u32_e64 v8, s0, 0, v8, s0
	v_cndmask_b32_e64 v5, 0, 1, s2
	v_lshlrev_b32_e32 v23, v4, v16
	v_cmp_ne_u32_e64 s0, 0, v2
	v_fmac_f16_e32 v17, v44, v12
	v_sub_nc_u32_e32 v4, 0x3f1, v22
	v_and_or_b32 v21, 0xffe, v21, v5
	v_mul_f16_sdwa v12, v44, v12 dst_sel:DWORD dst_unused:UNUSED_PAD src0_sel:WORD_1 src1_sel:DWORD
	v_cndmask_b32_e64 v2, 0, 1, s0
	v_cmp_ne_u32_e64 s0, v23, v19
	v_cvt_f32_f16_e32 v5, v17
	v_or_b32_e32 v17, 0x1000, v21
	v_med3_i32 v24, v4, 0, 13
	v_lshl_or_b32 v2, v2, 9, 0x7c00
	v_cndmask_b32_e64 v19, 0, 1, s0
	v_cmp_gt_i32_e64 s0, 31, v15
	v_cvt_f64_f32_e32 v[4:5], v5
	v_lshrrev_b32_e32 v23, v24, v17
	v_fma_f16 v12, v44, v18, -v12
	v_or_b32_e32 v16, v16, v19
	v_cndmask_b32_e64 v8, 0x7c00, v8, s0
	v_cmp_eq_u32_e64 s0, 0x40f, v15
	v_lshl_or_b32 v19, v20, 12, v6
	v_lshlrev_b32_e32 v24, v24, v23
	v_cmp_gt_i32_e64 s2, 31, v20
	v_and_b32_e32 v14, 0xffff, v14
	v_cndmask_b32_e64 v8, v8, v2, s0
	v_cmp_gt_i32_e64 s0, 1, v20
	v_lshrrev_b32_e32 v9, 16, v9
	v_cndmask_b32_e64 v15, v19, v16, s0
	v_cmp_ne_u32_e64 s0, v24, v17
	v_add_nc_u32_e32 v17, 0xfffffc10, v22
	v_lshrrev_b32_e32 v16, 16, v3
	v_and_b32_e32 v19, 7, v15
	v_cndmask_b32_e64 v2, 0, 1, s0
	v_cmp_gt_i32_e64 s1, 1, v17
	v_lshrrev_b32_e32 v15, 2, v15
	v_and_or_b32 v8, 0x8000, v16, v8
	v_cmp_lt_i32_e64 s0, 5, v19
	v_or_b32_e32 v22, v23, v2
	v_mul_f64 v[2:3], v[4:5], s[4:5]
	v_lshl_or_b32 v4, v17, 12, v21
	v_cvt_f32_f16_e32 v5, v12
	v_cndmask_b32_e64 v12, v4, v22, s1
	v_cmp_eq_u32_e64 s1, 3, v19
	v_cvt_f64_f32_e32 v[4:5], v5
	v_and_b32_e32 v16, 7, v12
	s_or_b32 s0, s1, s0
	v_lshrrev_b32_e32 v12, 2, v12
	v_add_co_ci_u32_e64 v15, s0, 0, v15, s0
	v_cmp_ne_u32_e64 s0, 0, v6
	v_cmp_eq_u32_e64 s1, 3, v16
	v_cndmask_b32_e64 v15, 0x7c00, v15, s2
	v_cndmask_b32_e64 v6, 0, 1, s0
	v_cmp_lt_i32_e64 s0, 5, v16
	v_and_or_b32 v2, 0x1ff, v3, v2
	v_lshrrev_b32_e32 v16, 8, v3
	v_bfe_u32 v18, v3, 20, 11
	v_lshl_or_b32 v6, v6, 9, 0x7c00
	s_or_b32 s0, s1, s0
	v_add_co_ci_u32_e64 v12, s0, 0, v12, s0
	v_cmp_ne_u32_e64 s0, 0, v2
	v_mul_f64 v[4:5], v[4:5], s[4:5]
	v_cndmask_b32_e64 v2, 0, 1, s0
	v_cmp_ne_u32_e64 s0, 0, v21
	v_and_or_b32 v2, 0xffe, v16, v2
	v_cndmask_b32_e64 v19, 0, 1, s0
	v_sub_nc_u32_e32 v16, 0x3f1, v18
	v_cmp_gt_i32_e64 s0, 31, v17
	v_add_nc_u32_e32 v18, 0xfffffc10, v18
	v_or_b32_e32 v21, 0x1000, v2
	v_lshl_or_b32 v19, v19, 9, 0x7c00
	v_med3_i32 v16, v16, 0, 13
	v_cndmask_b32_e64 v12, 0x7c00, v12, s0
	v_cmp_eq_u32_e64 s0, 0x40f, v20
	v_and_or_b32 v4, 0x1ff, v5, v4
	v_cndmask_b32_e64 v6, v15, v6, s0
	v_lshrrev_b32_e32 v15, v16, v21
	v_cmp_eq_u32_e64 s0, 0x40f, v17
	v_lshl_or_b32 v17, v8, 16, v14
	v_lshrrev_b32_e32 v14, 16, v13
	v_and_or_b32 v6, 0x8000, v7, v6
	v_lshlrev_b32_e32 v7, v16, v15
	v_cndmask_b32_e64 v12, v12, v19, s0
	v_lshrrev_b32_e32 v8, 8, v5
	v_bfe_u32 v19, v5, 20, 11
	v_and_b32_e32 v16, 0xffff, v6
	v_cmp_ne_u32_e64 s0, v7, v21
	v_mul_f16_sdwa v6, v43, v14 dst_sel:DWORD dst_unused:UNUSED_PAD src0_sel:WORD_1 src1_sel:DWORD
	v_and_or_b32 v12, 0x8000, v9, v12
	v_lshl_or_b32 v9, v18, 12, v2
	v_cndmask_b32_e64 v7, 0, 1, s0
	v_cmp_ne_u32_e64 s0, 0, v4
	v_fmac_f16_e32 v6, v43, v13
	v_lshl_or_b32 v16, v12, 16, v16
	v_mul_f16_sdwa v13, v43, v13 dst_sel:DWORD dst_unused:UNUSED_PAD src0_sel:WORD_1 src1_sel:DWORD
	v_or_b32_e32 v7, v15, v7
	v_cndmask_b32_e64 v4, 0, 1, s0
	v_cvt_f32_f16_e32 v6, v6
	v_cmp_gt_i32_e64 s0, 1, v18
	v_fma_f16 v13, v43, v14, -v13
	v_and_or_b32 v4, 0xffe, v8, v4
	v_sub_nc_u32_e32 v8, 0x3f1, v19
	v_cndmask_b32_e64 v15, v9, v7, s0
	v_cvt_f64_f32_e32 v[6:7], v6
	v_add_nc_u32_e32 v19, 0xfffffc10, v19
	v_or_b32_e32 v20, 0x1000, v4
	v_med3_i32 v21, v8, 0, 13
	v_add_co_u32 v8, s0, v10, s10
	v_add_co_ci_u32_e64 v9, s0, s3, v11, s0
	v_lshrrev_b32_e32 v22, v21, v20
	v_and_b32_e32 v12, 7, v15
	v_add_co_u32 v10, s0, v8, s10
	v_add_co_ci_u32_e64 v11, s0, s3, v9, s0
	v_lshlrev_b32_e32 v21, v21, v22
	v_cmp_lt_i32_e64 s0, 5, v12
	v_cmp_eq_u32_e64 s1, 3, v12
	v_lshrrev_b32_e32 v12, 2, v15
	v_cvt_f32_f16_e32 v13, v13
	v_cmp_ne_u32_e64 s2, v21, v20
	s_or_b32 s0, s1, s0
	v_mul_f64 v[6:7], v[6:7], s[4:5]
	v_add_co_ci_u32_e64 v20, s0, 0, v12, s0
	v_cndmask_b32_e64 v14, 0, 1, s2
	v_cmp_ne_u32_e64 s0, 0, v2
	v_cvt_f64_f32_e32 v[12:13], v13
	v_or_b32_e32 v21, v22, v14
	v_lshl_or_b32 v22, v19, 12, v4
	v_cndmask_b32_e64 v2, 0, 1, s0
	v_cmp_gt_i32_e64 s0, 1, v19
	ds_read2_b32 v[14:15], v40 offset0:140 offset1:154
	global_store_dword v[8:9], v17, off
	global_store_dword v[10:11], v16, off
	v_lshl_or_b32 v2, v2, 9, 0x7c00
	v_cndmask_b32_e64 v21, v22, v21, s0
	v_cmp_gt_i32_e64 s0, 31, v18
	v_lshrrev_b32_e32 v22, 16, v5
	v_and_b32_e32 v8, 7, v21
	v_cndmask_b32_e64 v20, 0x7c00, v20, s0
	v_cmp_eq_u32_e64 s0, 0x40f, v18
	v_lshrrev_b32_e32 v17, 8, v7
	v_bfe_u32 v18, v7, 20, 11
	v_cmp_eq_u32_e64 s1, 3, v8
	v_cndmask_b32_e64 v9, v20, v2, s0
	v_and_or_b32 v2, 0x1ff, v7, v6
	v_cmp_lt_i32_e64 s0, 5, v8
	v_lshrrev_b32_e32 v6, 16, v3
	v_lshrrev_b32_e32 v8, 2, v21
	s_waitcnt lgkmcnt(0)
	v_lshrrev_b32_e32 v20, 16, v14
	v_cmp_ne_u32_e64 s2, 0, v2
	v_mul_f64 v[2:3], v[12:13], s[4:5]
	v_sub_nc_u32_e32 v12, 0x3f1, v18
	s_or_b32 s0, s1, s0
	v_mul_f16_sdwa v13, v42, v20 dst_sel:DWORD dst_unused:UNUSED_PAD src0_sel:WORD_1 src1_sel:DWORD
	v_cndmask_b32_e64 v16, 0, 1, s2
	v_add_co_ci_u32_e64 v8, s0, 0, v8, s0
	v_cmp_ne_u32_e64 s0, 0, v4
	v_med3_i32 v12, v12, 0, 13
	v_and_or_b32 v16, 0xffe, v17, v16
	v_fmac_f16_e32 v13, v42, v14
	v_and_or_b32 v6, 0x8000, v6, v9
	v_cndmask_b32_e64 v4, 0, 1, s0
	v_cmp_gt_i32_e64 s0, 31, v19
	v_or_b32_e32 v17, 0x1000, v16
	v_cvt_f32_f16_e32 v9, v13
	v_and_b32_e32 v6, 0xffff, v6
	v_lshl_or_b32 v4, v4, 9, 0x7c00
	v_cndmask_b32_e64 v8, 0x7c00, v8, s0
	v_lshrrev_b32_e32 v21, v12, v17
	v_cmp_eq_u32_e64 s0, 0x40f, v19
	v_lshrrev_b32_e32 v7, 16, v7
	v_and_or_b32 v2, 0x1ff, v3, v2
	v_bfe_u32 v23, v3, 20, 11
	v_lshlrev_b32_e32 v12, v12, v21
	v_cndmask_b32_e64 v19, v8, v4, s0
	v_cvt_f64_f32_e32 v[4:5], v9
	v_mad_u64_u32 v[8:9], null, s8, v41, 0
	v_cmp_ne_u32_e64 s0, v12, v17
	v_add_nc_u32_e32 v17, 0xfffffc10, v18
	v_lshrrev_b32_e32 v18, 8, v3
	v_and_or_b32 v19, 0x8000, v22, v19
	v_cndmask_b32_e64 v12, 0, 1, s0
	v_cmp_ne_u32_e64 s0, 0, v2
	v_mov_b32_e32 v2, v9
	v_sub_nc_u32_e32 v9, 0x3f1, v23
	v_lshl_or_b32 v19, v19, 16, v6
	v_or_b32_e32 v12, v21, v12
	v_cndmask_b32_e64 v13, 0, 1, s0
	v_lshl_or_b32 v21, v17, 12, v16
	v_cmp_gt_i32_e64 s0, 1, v17
	v_and_or_b32 v18, 0xffe, v18, v13
	v_cndmask_b32_e64 v21, v21, v12, s0
	v_mad_u64_u32 v[12:13], null, s9, v41, v[2:3]
	v_or_b32_e32 v2, 0x1000, v18
	v_med3_i32 v13, v9, 0, 13
	v_and_b32_e32 v9, 7, v21
	v_mul_f64 v[4:5], v[4:5], s[4:5]
	v_lshrrev_b32_e32 v22, v13, v2
	v_cmp_lt_i32_e64 s0, 5, v9
	v_cmp_eq_u32_e64 s1, 3, v9
	v_mov_b32_e32 v9, v12
	v_lshrrev_b32_e32 v12, 2, v21
	v_lshlrev_b32_e32 v13, v13, v22
	v_add_nc_u32_e32 v21, 0xfffffc10, v23
	s_or_b32 s0, s1, s0
	v_lshrrev_b32_e32 v23, 16, v15
	v_add_co_ci_u32_e64 v6, s0, 0, v12, s0
	v_cmp_ne_u32_e64 s0, v13, v2
	v_mul_f16_sdwa v12, v42, v14 dst_sel:DWORD dst_unused:UNUSED_PAD src0_sel:WORD_1 src1_sel:DWORD
	v_lshl_or_b32 v13, v21, 12, v18
	v_mul_f16_sdwa v24, v39, v23 dst_sel:DWORD dst_unused:UNUSED_PAD src0_sel:WORD_1 src1_sel:DWORD
	v_lshlrev_b64 v[8:9], 2, v[8:9]
	v_cndmask_b32_e64 v2, 0, 1, s0
	v_cmp_gt_i32_e64 s0, 31, v17
	v_fma_f16 v12, v42, v20, -v12
	v_and_or_b32 v4, 0x1ff, v5, v4
	v_fmac_f16_e32 v24, v39, v15
	v_or_b32_e32 v2, v22, v2
	v_cndmask_b32_e64 v6, 0x7c00, v6, s0
	v_cmp_ne_u32_e64 s0, 0, v16
	v_cvt_f32_f16_e32 v12, v12
	v_bfe_u32 v16, v5, 20, 11
	v_mul_f16_sdwa v15, v39, v15 dst_sel:DWORD dst_unused:UNUSED_PAD src0_sel:WORD_1 src1_sel:DWORD
	v_cndmask_b32_e64 v14, 0, 1, s0
	v_cmp_gt_i32_e64 s0, 1, v21
	v_sub_nc_u32_e32 v22, 0x3f1, v16
	v_lshl_or_b32 v14, v14, 9, 0x7c00
	v_cndmask_b32_e64 v2, v13, v2, s0
	v_cmp_ne_u32_e64 s0, 0, v4
	v_lshrrev_b32_e32 v13, 8, v5
	v_and_b32_e32 v20, 7, v2
	v_cndmask_b32_e64 v4, 0, 1, s0
	v_cmp_eq_u32_e64 s0, 0x40f, v17
	v_lshrrev_b32_e32 v2, 2, v2
	v_med3_i32 v17, v22, 0, 13
	v_cmp_eq_u32_e64 s1, 3, v20
	v_and_or_b32 v4, 0xffe, v13, v4
	v_cvt_f64_f32_e32 v[12:13], v12
	v_cndmask_b32_e64 v6, v6, v14, s0
	v_cmp_lt_i32_e64 s0, 5, v20
	v_or_b32_e32 v14, 0x1000, v4
	v_and_or_b32 v20, 0x8000, v7, v6
	s_or_b32 s0, s1, s0
	v_add_co_ci_u32_e64 v2, s0, 0, v2, s0
	v_lshrrev_b32_e32 v22, v17, v14
	v_cmp_ne_u32_e64 s0, 0, v18
	v_lshlrev_b32_e32 v17, v17, v22
	v_cndmask_b32_e64 v18, 0, 1, s0
	v_cmp_gt_i32_e64 s0, 31, v21
	v_mul_f64 v[6:7], v[12:13], s[4:5]
	v_cndmask_b32_e64 v2, 0x7c00, v2, s0
	v_cmp_ne_u32_e64 s0, v17, v14
	v_lshl_or_b32 v12, v18, 9, 0x7c00
	v_add_nc_u32_e32 v14, 0xfffffc10, v16
	v_cvt_f32_f16_e32 v16, v24
	v_lshrrev_b32_e32 v17, 16, v3
	v_cndmask_b32_e64 v13, 0, 1, s0
	v_cmp_eq_u32_e64 s0, 0x40f, v21
	v_lshl_or_b32 v18, v14, 12, v4
	v_or_b32_e32 v13, v22, v13
	v_cndmask_b32_e64 v12, v2, v12, s0
	v_cvt_f64_f32_e32 v[2:3], v16
	v_add_co_u32 v8, s0, v0, v8
	v_add_co_ci_u32_e64 v9, s0, v1, v9, s0
	v_cmp_gt_i32_e64 s0, 1, v14
	v_and_or_b32 v12, 0x8000, v17, v12
	v_and_b32_e32 v16, 0xffff, v20
	v_and_or_b32 v6, 0x1ff, v7, v6
	global_store_dword v[8:9], v19, off
	v_cndmask_b32_e64 v13, v18, v13, s0
	v_mad_u64_u32 v[8:9], null, 0x70, s8, v[10:11]
	v_cmp_ne_u32_e64 s0, 0, v6
	v_lshl_or_b32 v12, v12, 16, v16
	v_and_b32_e32 v16, 7, v13
	v_lshrrev_b32_e32 v10, 8, v7
	v_bfe_u32 v11, v7, 20, 11
	v_cndmask_b32_e64 v6, 0, 1, s0
	v_lshrrev_b32_e32 v13, 2, v13
	v_cmp_lt_i32_e64 s0, 5, v16
	v_cmp_eq_u32_e64 s1, 3, v16
	v_mul_f64 v[2:3], v[2:3], s[4:5]
	v_and_or_b32 v6, 0xffe, v10, v6
	v_sub_nc_u32_e32 v10, 0x3f1, v11
	ds_read_b32 v20, v40 offset:672
	s_or_b32 s0, s1, s0
	v_add_co_ci_u32_e64 v13, s0, 0, v13, s0
	v_cmp_ne_u32_e64 s0, 0, v4
	v_or_b32_e32 v17, 0x1000, v6
	v_med3_i32 v18, v10, 0, 13
	v_mov_b32_e32 v4, v9
	v_cndmask_b32_e64 v16, 0, 1, s0
	v_cmp_gt_i32_e64 s0, 31, v14
	v_lshrrev_b32_e32 v19, v18, v17
	v_mad_u64_u32 v[9:10], null, 0x70, s9, v[4:5]
	v_lshl_or_b32 v16, v16, 9, 0x7c00
	v_cndmask_b32_e64 v13, 0x7c00, v13, s0
	v_lshlrev_b32_e32 v4, v18, v19
	v_cmp_eq_u32_e64 s0, 0x40f, v14
	v_and_or_b32 v2, 0x1ff, v3, v2
	v_fma_f16 v10, v39, v23, -v15
	v_add_nc_u32_e32 v14, 0xfffffc10, v11
	v_lshrrev_b32_e32 v15, 8, v3
	v_cndmask_b32_e64 v13, v13, v16, s0
	v_cmp_ne_u32_e64 s0, v4, v17
	v_cvt_f32_f16_e32 v10, v10
	v_bfe_u32 v16, v3, 20, 11
	v_lshl_or_b32 v17, v14, 12, v6
	s_waitcnt lgkmcnt(0)
	v_lshrrev_b32_e32 v18, 16, v20
	v_cndmask_b32_e64 v4, 0, 1, s0
	v_cmp_ne_u32_e64 s0, 0, v2
	v_cvt_f64_f32_e32 v[10:11], v10
	v_lshrrev_b32_e32 v5, 16, v5
	v_lshrrev_b32_e32 v3, 16, v3
	v_or_b32_e32 v4, v19, v4
	v_cndmask_b32_e64 v2, 0, 1, s0
	v_cmp_gt_i32_e64 s0, 1, v14
	v_mul_f16_sdwa v19, v38, v18 dst_sel:DWORD dst_unused:UNUSED_PAD src0_sel:WORD_1 src1_sel:DWORD
	v_and_or_b32 v13, 0x8000, v5, v13
	v_and_or_b32 v2, 0xffe, v15, v2
	v_sub_nc_u32_e32 v15, 0x3f1, v16
	v_cndmask_b32_e64 v4, v17, v4, s0
	v_fmac_f16_e32 v19, v38, v20
	v_add_nc_u32_e32 v16, 0xfffffc10, v16
	v_or_b32_e32 v17, 0x1000, v2
	v_med3_i32 v15, v15, 0, 13
	v_and_b32_e32 v21, 7, v4
	v_cvt_f32_f16_e32 v19, v19
	v_and_b32_e32 v13, 0xffff, v13
	v_lshrrev_b32_e32 v22, v15, v17
	v_cmp_lt_i32_e64 s0, 5, v21
	v_cmp_eq_u32_e64 s1, 3, v21
	v_lshrrev_b32_e32 v21, 2, v4
	v_mul_f64 v[4:5], v[10:11], s[4:5]
	v_lshlrev_b32_e32 v15, v15, v22
	v_cvt_f64_f32_e32 v[10:11], v19
	s_or_b32 s0, s1, s0
	v_lshl_or_b32 v19, v16, 12, v2
	v_add_co_ci_u32_e64 v21, s0, 0, v21, s0
	v_cmp_ne_u32_e64 s0, v15, v17
	v_mul_f16_sdwa v17, v38, v20 dst_sel:DWORD dst_unused:UNUSED_PAD src0_sel:WORD_1 src1_sel:DWORD
	v_cndmask_b32_e64 v15, 0, 1, s0
	v_cmp_ne_u32_e64 s0, 0, v6
	v_fma_f16 v17, v38, v18, -v17
	v_or_b32_e32 v15, v22, v15
	v_cndmask_b32_e64 v6, 0, 1, s0
	v_cmp_gt_i32_e64 s0, 31, v14
	v_cvt_f32_f16_e32 v17, v17
	v_and_or_b32 v4, 0x1ff, v5, v4
	v_lshl_or_b32 v6, v6, 9, 0x7c00
	v_cndmask_b32_e64 v18, 0x7c00, v21, s0
	v_cmp_gt_i32_e64 s0, 1, v16
	v_mul_f64 v[10:11], v[10:11], s[4:5]
	v_bfe_u32 v20, v5, 20, 11
	v_cndmask_b32_e64 v15, v19, v15, s0
	v_cmp_eq_u32_e64 s0, 0x40f, v14
	v_lshrrev_b32_e32 v19, 8, v5
	v_lshrrev_b32_e32 v5, 16, v5
	v_cndmask_b32_e64 v14, v18, v6, s0
	v_lshrrev_b32_e32 v18, 16, v7
	v_cvt_f64_f32_e32 v[6:7], v17
	v_cmp_ne_u32_e64 s0, 0, v4
	v_and_b32_e32 v17, 7, v15
	v_and_or_b32 v14, 0x8000, v18, v14
	v_sub_nc_u32_e32 v18, 0x3f1, v20
	v_cndmask_b32_e64 v4, 0, 1, s0
	v_cmp_lt_i32_e64 s0, 5, v17
	v_cmp_eq_u32_e64 s1, 3, v17
	v_lshl_or_b32 v13, v14, 16, v13
	v_lshrrev_b32_e32 v14, 2, v15
	v_and_or_b32 v4, 0xffe, v19, v4
	v_med3_i32 v17, v18, 0, 13
	s_or_b32 s0, s1, s0
	v_and_or_b32 v10, 0x1ff, v11, v10
	v_add_co_ci_u32_e64 v14, s0, 0, v14, s0
	v_or_b32_e32 v15, 0x1000, v4
	v_cmp_ne_u32_e64 s0, 0, v2
	v_lshrrev_b32_e32 v19, 8, v11
	v_bfe_u32 v21, v11, 20, 11
	v_lshrrev_b32_e32 v11, 16, v11
	v_lshrrev_b32_e32 v18, v17, v15
	v_cndmask_b32_e64 v2, 0, 1, s0
	v_cmp_gt_i32_e64 s0, 31, v16
	v_mul_f64 v[6:7], v[6:7], s[4:5]
	v_lshlrev_b32_e32 v17, v17, v18
	v_lshl_or_b32 v2, v2, 9, 0x7c00
	v_cndmask_b32_e64 v14, 0x7c00, v14, s0
	v_cmp_ne_u32_e64 s0, 0, v10
	v_cndmask_b32_e64 v10, 0, 1, s0
	v_cmp_ne_u32_e64 s0, v17, v15
	v_add_nc_u32_e32 v17, 0xfffffc10, v20
	v_and_or_b32 v10, 0xffe, v19, v10
	v_cndmask_b32_e64 v15, 0, 1, s0
	v_sub_nc_u32_e32 v19, 0x3f1, v21
	v_cmp_eq_u32_e64 s0, 0x40f, v16
	v_or_b32_e32 v16, 0x1000, v10
	v_and_or_b32 v6, 0x1ff, v7, v6
	v_cndmask_b32_e64 v2, v14, v2, s0
	v_or_b32_e32 v14, v18, v15
	v_lshl_or_b32 v15, v17, 12, v4
	v_med3_i32 v18, v19, 0, 13
	v_cmp_gt_i32_e64 s0, 1, v17
	v_lshrrev_b32_e32 v19, 8, v7
	v_bfe_u32 v20, v7, 20, 11
	v_and_or_b32 v2, 0x8000, v3, v2
	v_lshrrev_b32_e32 v7, 16, v7
	v_cndmask_b32_e64 v14, v15, v14, s0
	v_lshrrev_b32_e32 v15, v18, v16
	v_cmp_ne_u32_e64 s0, 0, v6
	v_and_b32_e32 v22, 7, v14
	v_lshlrev_b32_e32 v18, v18, v15
	v_cndmask_b32_e64 v6, 0, 1, s0
	v_lshrrev_b32_e32 v14, 2, v14
	v_cmp_lt_i32_e64 s0, 5, v22
	v_cmp_ne_u32_e64 s1, v18, v16
	v_and_or_b32 v3, 0xffe, v19, v6
	v_sub_nc_u32_e32 v6, 0x3f1, v20
	v_add_nc_u32_e32 v19, 0xfffffc10, v21
	v_cndmask_b32_e64 v16, 0, 1, s1
	v_cmp_eq_u32_e64 s1, 3, v22
	v_or_b32_e32 v18, 0x1000, v3
	v_med3_i32 v6, v6, 0, 13
	v_lshl_or_b32 v21, v19, 12, v10
	v_or_b32_e32 v15, v15, v16
	s_or_b32 s0, s1, s0
	v_add_co_ci_u32_e64 v14, s0, 0, v14, s0
	v_lshrrev_b32_e32 v16, v6, v18
	v_cmp_gt_i32_e64 s0, 1, v19
	v_lshlrev_b32_e32 v6, v6, v16
	v_cndmask_b32_e64 v15, v21, v15, s0
	v_cmp_ne_u32_e64 s0, 0, v4
	v_cndmask_b32_e64 v4, 0, 1, s0
	v_cmp_ne_u32_e64 s0, v6, v18
	v_add_nc_u32_e32 v18, 0xfffffc10, v20
	v_and_b32_e32 v20, 7, v15
	v_lshl_or_b32 v4, v4, 9, 0x7c00
	v_cndmask_b32_e64 v6, 0, 1, s0
	v_cmp_gt_i32_e64 s0, 31, v17
	v_cmp_gt_i32_e64 s2, 1, v18
	v_cmp_eq_u32_e64 s1, 3, v20
	v_or_b32_e32 v6, v16, v6
	v_lshl_or_b32 v16, v18, 12, v3
	v_cndmask_b32_e64 v14, 0x7c00, v14, s0
	v_cmp_lt_i32_e64 s0, 5, v20
	v_cndmask_b32_e64 v6, v16, v6, s2
	v_cmp_eq_u32_e64 s2, 0x40f, v17
	s_or_b32 s0, s1, s0
	v_cndmask_b32_e64 v4, v14, v4, s2
	v_lshrrev_b32_e32 v14, 2, v15
	v_and_b32_e32 v15, 7, v6
	v_lshrrev_b32_e32 v6, 2, v6
	v_cmp_gt_i32_e64 s2, 31, v19
	v_and_or_b32 v4, 0x8000, v5, v4
	v_add_co_ci_u32_e64 v14, s0, 0, v14, s0
	v_cmp_ne_u32_e64 s0, 0, v10
	v_cmp_eq_u32_e64 s1, 3, v15
	v_and_b32_e32 v5, 0xffff, v2
	v_cndmask_b32_e64 v14, 0x7c00, v14, s2
	v_cndmask_b32_e64 v10, 0, 1, s0
	v_cmp_lt_i32_e64 s0, 5, v15
	v_lshl_or_b32 v10, v10, 9, 0x7c00
	s_or_b32 s0, s1, s0
	v_add_co_ci_u32_e64 v6, s0, 0, v6, s0
	v_cmp_ne_u32_e64 s0, 0, v3
	v_cndmask_b32_e64 v3, 0, 1, s0
	v_cmp_eq_u32_e64 s0, 0x40f, v19
	v_lshl_or_b32 v3, v3, 9, 0x7c00
	v_cndmask_b32_e64 v10, v14, v10, s0
	v_cmp_gt_i32_e64 s0, 31, v18
	v_and_or_b32 v10, 0x8000, v11, v10
	v_cndmask_b32_e64 v6, 0x7c00, v6, s0
	v_cmp_eq_u32_e64 s0, 0x40f, v18
	v_lshl_or_b32 v11, v4, 16, v5
	v_cndmask_b32_e64 v6, v6, v3, s0
	v_add_co_u32 v2, s0, v8, s10
	v_add_co_ci_u32_e64 v3, s0, s3, v9, s0
	v_and_or_b32 v6, 0x8000, v7, v6
	v_and_b32_e32 v7, 0xffff, v10
	v_add_co_u32 v4, s0, v2, s10
	v_add_co_ci_u32_e64 v5, s0, s3, v3, s0
	v_lshl_or_b32 v10, v6, 16, v7
	v_add_co_u32 v6, s0, v4, s10
	v_add_co_ci_u32_e64 v7, s0, s3, v5, s0
	global_store_dword v[8:9], v12, off
	global_store_dword v[2:3], v13, off
	;; [unrolled: 1-line block ×4, first 2 shown]
	s_and_b32 exec_lo, exec_lo, vcc_lo
	s_cbranch_execz .LBB0_15
; %bb.14:
	v_mov_b32_e32 v2, 0
	ds_read2_b32 v[3:4], v37 offset0:13 offset1:27
	global_load_dword v5, v2, s[6:7] offset:52
	s_waitcnt lgkmcnt(0)
	v_lshrrev_b32_e32 v6, 16, v3
	s_waitcnt vmcnt(0)
	v_mul_f16_sdwa v7, v6, v5 dst_sel:DWORD dst_unused:UNUSED_PAD src0_sel:DWORD src1_sel:WORD_1
	v_mul_f16_sdwa v8, v3, v5 dst_sel:DWORD dst_unused:UNUSED_PAD src0_sel:DWORD src1_sel:WORD_1
	v_fmac_f16_e32 v7, v3, v5
	v_fma_f16 v3, v5, v6, -v8
	v_cvt_f32_f16_e32 v5, v7
	v_cvt_f32_f16_e32 v3, v3
	v_cvt_f64_f32_e32 v[5:6], v5
	v_cvt_f64_f32_e32 v[7:8], v3
	v_mul_f64 v[5:6], v[5:6], s[4:5]
	v_mul_f64 v[7:8], v[7:8], s[4:5]
	v_and_or_b32 v3, 0x1ff, v6, v5
	v_and_or_b32 v7, 0x1ff, v8, v7
	v_lshrrev_b32_e32 v5, 8, v6
	v_bfe_u32 v9, v6, 20, 11
	v_lshrrev_b32_e32 v10, 8, v8
	v_cmp_ne_u32_e32 vcc_lo, 0, v3
	v_bfe_u32 v11, v8, 20, 11
	v_lshrrev_b32_e32 v6, 16, v6
	v_sub_nc_u32_e32 v12, 0x3f1, v9
	v_add_nc_u32_e32 v16, 0xfffffc10, v9
	v_cndmask_b32_e64 v3, 0, 1, vcc_lo
	v_cmp_ne_u32_e32 vcc_lo, 0, v7
	v_lshrrev_b32_e32 v8, 16, v8
	v_and_or_b32 v3, 0xffe, v5, v3
	v_cndmask_b32_e64 v7, 0, 1, vcc_lo
	v_sub_nc_u32_e32 v5, 0x3f1, v11
	v_add_nc_u32_e32 v11, 0xfffffc10, v11
	v_and_or_b32 v7, 0xffe, v10, v7
	v_med3_i32 v10, v12, 0, 13
	v_or_b32_e32 v12, 0x1000, v3
	v_med3_i32 v5, v5, 0, 13
	v_or_b32_e32 v13, 0x1000, v7
	v_lshrrev_b32_e32 v14, v10, v12
	v_lshrrev_b32_e32 v15, v5, v13
	v_lshlrev_b32_e32 v10, v10, v14
	v_lshlrev_b32_e32 v5, v5, v15
	v_cmp_ne_u32_e32 vcc_lo, v10, v12
	v_mad_u64_u32 v[9:10], null, s8, 52, v[0:1]
	v_cndmask_b32_e64 v12, 0, 1, vcc_lo
	v_cmp_ne_u32_e32 vcc_lo, v5, v13
	v_lshl_or_b32 v13, v16, 12, v3
	v_or_b32_e32 v12, v14, v12
	v_cndmask_b32_e64 v5, 0, 1, vcc_lo
	v_cmp_gt_i32_e32 vcc_lo, 1, v16
	v_lshl_or_b32 v14, v11, 12, v7
	v_or_b32_e32 v5, v15, v5
	v_cndmask_b32_e32 v12, v13, v12, vcc_lo
	v_cmp_gt_i32_e32 vcc_lo, 1, v11
	v_and_b32_e32 v13, 7, v12
	v_cndmask_b32_e32 v5, v14, v5, vcc_lo
	v_cmp_ne_u32_e32 vcc_lo, 0, v3
	v_lshrrev_b32_e32 v12, 2, v12
	v_cmp_eq_u32_e64 s0, 3, v13
	v_and_b32_e32 v14, 7, v5
	v_cndmask_b32_e64 v3, 0, 1, vcc_lo
	v_cmp_ne_u32_e32 vcc_lo, 0, v7
	v_lshrrev_b32_e32 v5, 2, v5
	v_cmp_lt_i32_e64 s1, 5, v14
	v_cmp_eq_u32_e64 s2, 3, v14
	v_cndmask_b32_e64 v7, 0, 1, vcc_lo
	v_cmp_lt_i32_e32 vcc_lo, 5, v13
	v_lshl_or_b32 v3, v3, 9, 0x7c00
	v_lshl_or_b32 v7, v7, 9, 0x7c00
	s_or_b32 vcc_lo, s0, vcc_lo
	v_add_co_ci_u32_e32 v12, vcc_lo, 0, v12, vcc_lo
	s_or_b32 vcc_lo, s2, s1
	v_add_co_ci_u32_e32 v5, vcc_lo, 0, v5, vcc_lo
	v_cmp_gt_i32_e32 vcc_lo, 31, v16
	v_cndmask_b32_e32 v12, 0x7c00, v12, vcc_lo
	v_cmp_gt_i32_e32 vcc_lo, 31, v11
	v_cndmask_b32_e32 v5, 0x7c00, v5, vcc_lo
	v_cmp_eq_u32_e32 vcc_lo, 0x40f, v16
	v_cndmask_b32_e32 v12, v12, v3, vcc_lo
	v_cmp_eq_u32_e32 vcc_lo, 0x40f, v11
	v_mov_b32_e32 v3, v10
	v_and_or_b32 v10, 0x8000, v6, v12
	v_cndmask_b32_e32 v7, v5, v7, vcc_lo
	v_mad_u64_u32 v[5:6], null, s9, 52, v[3:4]
	v_and_b32_e32 v6, 0xffff, v10
	v_and_or_b32 v3, 0x8000, v8, v7
	v_mov_b32_e32 v10, v5
	v_lshl_or_b32 v3, v3, 16, v6
	v_lshrrev_b32_e32 v5, 16, v4
	global_store_dword v[9:10], v3, off
	global_load_dword v3, v2, s[6:7] offset:108
	s_waitcnt vmcnt(0)
	v_mul_f16_sdwa v6, v5, v3 dst_sel:DWORD dst_unused:UNUSED_PAD src0_sel:DWORD src1_sel:WORD_1
	v_mul_f16_sdwa v7, v4, v3 dst_sel:DWORD dst_unused:UNUSED_PAD src0_sel:DWORD src1_sel:WORD_1
	v_fmac_f16_e32 v6, v4, v3
	v_fma_f16 v3, v3, v5, -v7
	v_cvt_f32_f16_e32 v4, v6
	v_cvt_f32_f16_e32 v5, v3
	v_cvt_f64_f32_e32 v[3:4], v4
	v_cvt_f64_f32_e32 v[5:6], v5
	v_mul_f64 v[3:4], v[3:4], s[4:5]
	v_mul_f64 v[5:6], v[5:6], s[4:5]
	v_and_or_b32 v3, 0x1ff, v4, v3
	v_and_or_b32 v5, 0x1ff, v6, v5
	v_lshrrev_b32_e32 v7, 8, v4
	v_bfe_u32 v8, v4, 20, 11
	v_lshrrev_b32_e32 v9, 8, v6
	v_cmp_ne_u32_e32 vcc_lo, 0, v3
	v_bfe_u32 v10, v6, 20, 11
	v_lshrrev_b32_e32 v4, 16, v4
	v_sub_nc_u32_e32 v11, 0x3f1, v8
	v_add_nc_u32_e32 v15, 0xfffffc10, v8
	v_cndmask_b32_e64 v3, 0, 1, vcc_lo
	v_cmp_ne_u32_e32 vcc_lo, 0, v5
	v_lshrrev_b32_e32 v6, 16, v6
	v_and_or_b32 v3, 0xffe, v7, v3
	v_cndmask_b32_e64 v5, 0, 1, vcc_lo
	v_sub_nc_u32_e32 v7, 0x3f1, v10
	v_add_nc_u32_e32 v10, 0xfffffc10, v10
	v_and_or_b32 v5, 0xffe, v9, v5
	v_med3_i32 v9, v11, 0, 13
	v_or_b32_e32 v11, 0x1000, v3
	v_med3_i32 v7, v7, 0, 13
	v_or_b32_e32 v12, 0x1000, v5
	v_lshrrev_b32_e32 v13, v9, v11
	v_lshrrev_b32_e32 v14, v7, v12
	v_lshlrev_b32_e32 v9, v9, v13
	v_lshlrev_b32_e32 v7, v7, v14
	v_cmp_ne_u32_e32 vcc_lo, v9, v11
	v_cndmask_b32_e64 v9, 0, 1, vcc_lo
	v_cmp_ne_u32_e32 vcc_lo, v7, v12
	v_lshl_or_b32 v12, v15, 12, v3
	v_mad_u64_u32 v[7:8], null, 0x6c, s8, v[0:1]
	v_or_b32_e32 v9, v13, v9
	v_cndmask_b32_e64 v11, 0, 1, vcc_lo
	v_cmp_gt_i32_e32 vcc_lo, 1, v15
	v_lshl_or_b32 v13, v10, 12, v5
	v_or_b32_e32 v11, v14, v11
	v_cndmask_b32_e32 v9, v12, v9, vcc_lo
	v_cmp_gt_i32_e32 vcc_lo, 1, v10
	v_and_b32_e32 v12, 7, v9
	v_cndmask_b32_e32 v11, v13, v11, vcc_lo
	v_cmp_ne_u32_e32 vcc_lo, 0, v3
	v_lshrrev_b32_e32 v9, 2, v9
	v_cmp_eq_u32_e64 s0, 3, v12
	v_and_b32_e32 v13, 7, v11
	v_cndmask_b32_e64 v3, 0, 1, vcc_lo
	v_cmp_ne_u32_e32 vcc_lo, 0, v5
	v_lshrrev_b32_e32 v11, 2, v11
	v_cmp_lt_i32_e64 s1, 5, v13
	v_cmp_eq_u32_e64 s2, 3, v13
	v_cndmask_b32_e64 v5, 0, 1, vcc_lo
	v_cmp_lt_i32_e32 vcc_lo, 5, v12
	v_lshl_or_b32 v3, v3, 9, 0x7c00
	v_lshl_or_b32 v5, v5, 9, 0x7c00
	s_or_b32 vcc_lo, s0, vcc_lo
	v_add_co_ci_u32_e32 v9, vcc_lo, 0, v9, vcc_lo
	s_or_b32 vcc_lo, s2, s1
	v_add_co_ci_u32_e32 v11, vcc_lo, 0, v11, vcc_lo
	v_cmp_gt_i32_e32 vcc_lo, 31, v15
	v_cndmask_b32_e32 v9, 0x7c00, v9, vcc_lo
	v_cmp_gt_i32_e32 vcc_lo, 31, v10
	v_cndmask_b32_e32 v11, 0x7c00, v11, vcc_lo
	v_cmp_eq_u32_e32 vcc_lo, 0x40f, v15
	v_cndmask_b32_e32 v9, v9, v3, vcc_lo
	v_cmp_eq_u32_e32 vcc_lo, 0x40f, v10
	v_mov_b32_e32 v3, v8
	v_and_or_b32 v8, 0x8000, v4, v9
	v_cndmask_b32_e32 v5, v11, v5, vcc_lo
	v_mad_u64_u32 v[3:4], null, 0x6c, s9, v[3:4]
	v_and_or_b32 v4, 0x8000, v6, v5
	v_and_b32_e32 v5, 0xffff, v8
	v_mov_b32_e32 v8, v3
	v_lshl_or_b32 v3, v4, 16, v5
	global_store_dword v[7:8], v3, off
	global_load_dword v5, v2, s[6:7] offset:164
	ds_read2_b32 v[3:4], v37 offset0:41 offset1:55
	s_waitcnt lgkmcnt(0)
	v_lshrrev_b32_e32 v6, 16, v3
	s_waitcnt vmcnt(0)
	v_mul_f16_sdwa v7, v6, v5 dst_sel:DWORD dst_unused:UNUSED_PAD src0_sel:DWORD src1_sel:WORD_1
	v_mul_f16_sdwa v8, v3, v5 dst_sel:DWORD dst_unused:UNUSED_PAD src0_sel:DWORD src1_sel:WORD_1
	v_fmac_f16_e32 v7, v3, v5
	v_fma_f16 v3, v5, v6, -v8
	v_cvt_f32_f16_e32 v5, v7
	v_cvt_f32_f16_e32 v3, v3
	v_cvt_f64_f32_e32 v[5:6], v5
	v_cvt_f64_f32_e32 v[7:8], v3
	v_mul_f64 v[5:6], v[5:6], s[4:5]
	v_mul_f64 v[7:8], v[7:8], s[4:5]
	v_and_or_b32 v3, 0x1ff, v6, v5
	v_and_or_b32 v7, 0x1ff, v8, v7
	v_lshrrev_b32_e32 v5, 8, v6
	v_bfe_u32 v9, v6, 20, 11
	v_lshrrev_b32_e32 v10, 8, v8
	v_cmp_ne_u32_e32 vcc_lo, 0, v3
	v_bfe_u32 v11, v8, 20, 11
	v_lshrrev_b32_e32 v6, 16, v6
	v_sub_nc_u32_e32 v12, 0x3f1, v9
	v_add_nc_u32_e32 v16, 0xfffffc10, v9
	v_cndmask_b32_e64 v3, 0, 1, vcc_lo
	v_cmp_ne_u32_e32 vcc_lo, 0, v7
	v_lshrrev_b32_e32 v8, 16, v8
	v_and_or_b32 v3, 0xffe, v5, v3
	v_cndmask_b32_e64 v7, 0, 1, vcc_lo
	v_sub_nc_u32_e32 v5, 0x3f1, v11
	v_add_nc_u32_e32 v11, 0xfffffc10, v11
	v_and_or_b32 v7, 0xffe, v10, v7
	v_med3_i32 v10, v12, 0, 13
	v_or_b32_e32 v12, 0x1000, v3
	v_med3_i32 v5, v5, 0, 13
	v_or_b32_e32 v13, 0x1000, v7
	v_lshrrev_b32_e32 v14, v10, v12
	v_lshrrev_b32_e32 v15, v5, v13
	v_lshlrev_b32_e32 v10, v10, v14
	v_lshlrev_b32_e32 v5, v5, v15
	v_cmp_ne_u32_e32 vcc_lo, v10, v12
	v_mad_u64_u32 v[9:10], null, 0xa4, s8, v[0:1]
	v_cndmask_b32_e64 v12, 0, 1, vcc_lo
	v_cmp_ne_u32_e32 vcc_lo, v5, v13
	v_lshl_or_b32 v13, v16, 12, v3
	v_or_b32_e32 v12, v14, v12
	v_cndmask_b32_e64 v5, 0, 1, vcc_lo
	v_cmp_gt_i32_e32 vcc_lo, 1, v16
	v_lshl_or_b32 v14, v11, 12, v7
	v_or_b32_e32 v5, v15, v5
	v_cndmask_b32_e32 v12, v13, v12, vcc_lo
	v_cmp_gt_i32_e32 vcc_lo, 1, v11
	v_and_b32_e32 v13, 7, v12
	v_cndmask_b32_e32 v5, v14, v5, vcc_lo
	v_cmp_ne_u32_e32 vcc_lo, 0, v3
	v_lshrrev_b32_e32 v12, 2, v12
	v_cmp_eq_u32_e64 s0, 3, v13
	v_and_b32_e32 v14, 7, v5
	v_cndmask_b32_e64 v3, 0, 1, vcc_lo
	v_cmp_ne_u32_e32 vcc_lo, 0, v7
	v_lshrrev_b32_e32 v5, 2, v5
	v_cmp_lt_i32_e64 s1, 5, v14
	v_cmp_eq_u32_e64 s2, 3, v14
	v_cndmask_b32_e64 v7, 0, 1, vcc_lo
	v_cmp_lt_i32_e32 vcc_lo, 5, v13
	v_lshl_or_b32 v3, v3, 9, 0x7c00
	v_lshl_or_b32 v7, v7, 9, 0x7c00
	s_or_b32 vcc_lo, s0, vcc_lo
	v_add_co_ci_u32_e32 v12, vcc_lo, 0, v12, vcc_lo
	s_or_b32 vcc_lo, s2, s1
	v_add_co_ci_u32_e32 v5, vcc_lo, 0, v5, vcc_lo
	v_cmp_gt_i32_e32 vcc_lo, 31, v16
	v_cndmask_b32_e32 v12, 0x7c00, v12, vcc_lo
	v_cmp_gt_i32_e32 vcc_lo, 31, v11
	v_cndmask_b32_e32 v5, 0x7c00, v5, vcc_lo
	v_cmp_eq_u32_e32 vcc_lo, 0x40f, v16
	v_cndmask_b32_e32 v12, v12, v3, vcc_lo
	v_cmp_eq_u32_e32 vcc_lo, 0x40f, v11
	v_mov_b32_e32 v3, v10
	v_and_or_b32 v10, 0x8000, v6, v12
	v_cndmask_b32_e32 v7, v5, v7, vcc_lo
	v_mad_u64_u32 v[5:6], null, 0xa4, s9, v[3:4]
	v_and_b32_e32 v6, 0xffff, v10
	v_and_or_b32 v3, 0x8000, v8, v7
	v_mov_b32_e32 v10, v5
	v_lshl_or_b32 v3, v3, 16, v6
	v_lshrrev_b32_e32 v5, 16, v4
	global_store_dword v[9:10], v3, off
	global_load_dword v3, v2, s[6:7] offset:220
	s_waitcnt vmcnt(0)
	v_mul_f16_sdwa v6, v5, v3 dst_sel:DWORD dst_unused:UNUSED_PAD src0_sel:DWORD src1_sel:WORD_1
	v_mul_f16_sdwa v7, v4, v3 dst_sel:DWORD dst_unused:UNUSED_PAD src0_sel:DWORD src1_sel:WORD_1
	v_fmac_f16_e32 v6, v4, v3
	v_fma_f16 v3, v3, v5, -v7
	v_cvt_f32_f16_e32 v4, v6
	v_cvt_f32_f16_e32 v5, v3
	v_cvt_f64_f32_e32 v[3:4], v4
	v_cvt_f64_f32_e32 v[5:6], v5
	v_mul_f64 v[3:4], v[3:4], s[4:5]
	v_mul_f64 v[5:6], v[5:6], s[4:5]
	v_and_or_b32 v3, 0x1ff, v4, v3
	v_and_or_b32 v5, 0x1ff, v6, v5
	v_lshrrev_b32_e32 v7, 8, v4
	v_bfe_u32 v8, v4, 20, 11
	v_lshrrev_b32_e32 v9, 8, v6
	v_cmp_ne_u32_e32 vcc_lo, 0, v3
	v_bfe_u32 v10, v6, 20, 11
	v_lshrrev_b32_e32 v4, 16, v4
	v_sub_nc_u32_e32 v11, 0x3f1, v8
	v_add_nc_u32_e32 v15, 0xfffffc10, v8
	v_cndmask_b32_e64 v3, 0, 1, vcc_lo
	v_cmp_ne_u32_e32 vcc_lo, 0, v5
	v_lshrrev_b32_e32 v6, 16, v6
	v_and_or_b32 v3, 0xffe, v7, v3
	v_cndmask_b32_e64 v5, 0, 1, vcc_lo
	v_sub_nc_u32_e32 v7, 0x3f1, v10
	v_add_nc_u32_e32 v10, 0xfffffc10, v10
	v_and_or_b32 v5, 0xffe, v9, v5
	v_med3_i32 v9, v11, 0, 13
	v_or_b32_e32 v11, 0x1000, v3
	v_med3_i32 v7, v7, 0, 13
	v_or_b32_e32 v12, 0x1000, v5
	v_lshrrev_b32_e32 v13, v9, v11
	v_lshrrev_b32_e32 v14, v7, v12
	v_lshlrev_b32_e32 v9, v9, v13
	v_lshlrev_b32_e32 v7, v7, v14
	v_cmp_ne_u32_e32 vcc_lo, v9, v11
	v_cndmask_b32_e64 v9, 0, 1, vcc_lo
	v_cmp_ne_u32_e32 vcc_lo, v7, v12
	v_lshl_or_b32 v12, v15, 12, v3
	v_mad_u64_u32 v[7:8], null, 0xdc, s8, v[0:1]
	v_or_b32_e32 v9, v13, v9
	v_cndmask_b32_e64 v11, 0, 1, vcc_lo
	v_cmp_gt_i32_e32 vcc_lo, 1, v15
	v_lshl_or_b32 v13, v10, 12, v5
	v_or_b32_e32 v11, v14, v11
	v_cndmask_b32_e32 v9, v12, v9, vcc_lo
	v_cmp_gt_i32_e32 vcc_lo, 1, v10
	v_and_b32_e32 v12, 7, v9
	v_cndmask_b32_e32 v11, v13, v11, vcc_lo
	v_cmp_ne_u32_e32 vcc_lo, 0, v3
	v_lshrrev_b32_e32 v9, 2, v9
	v_cmp_eq_u32_e64 s0, 3, v12
	v_and_b32_e32 v13, 7, v11
	v_cndmask_b32_e64 v3, 0, 1, vcc_lo
	v_cmp_ne_u32_e32 vcc_lo, 0, v5
	v_lshrrev_b32_e32 v11, 2, v11
	v_cmp_lt_i32_e64 s1, 5, v13
	v_cmp_eq_u32_e64 s2, 3, v13
	v_cndmask_b32_e64 v5, 0, 1, vcc_lo
	v_cmp_lt_i32_e32 vcc_lo, 5, v12
	v_lshl_or_b32 v3, v3, 9, 0x7c00
	v_lshl_or_b32 v5, v5, 9, 0x7c00
	s_or_b32 vcc_lo, s0, vcc_lo
	v_add_co_ci_u32_e32 v9, vcc_lo, 0, v9, vcc_lo
	s_or_b32 vcc_lo, s2, s1
	v_add_co_ci_u32_e32 v11, vcc_lo, 0, v11, vcc_lo
	v_cmp_gt_i32_e32 vcc_lo, 31, v15
	v_cndmask_b32_e32 v9, 0x7c00, v9, vcc_lo
	v_cmp_gt_i32_e32 vcc_lo, 31, v10
	v_cndmask_b32_e32 v11, 0x7c00, v11, vcc_lo
	v_cmp_eq_u32_e32 vcc_lo, 0x40f, v15
	v_cndmask_b32_e32 v9, v9, v3, vcc_lo
	v_cmp_eq_u32_e32 vcc_lo, 0x40f, v10
	v_mov_b32_e32 v3, v8
	v_and_or_b32 v8, 0x8000, v4, v9
	v_cndmask_b32_e32 v5, v11, v5, vcc_lo
	v_mad_u64_u32 v[3:4], null, 0xdc, s9, v[3:4]
	v_and_or_b32 v4, 0x8000, v6, v5
	v_and_b32_e32 v5, 0xffff, v8
	v_mov_b32_e32 v8, v3
	v_lshl_or_b32 v3, v4, 16, v5
	global_store_dword v[7:8], v3, off
	global_load_dword v5, v2, s[6:7] offset:276
	ds_read2_b32 v[3:4], v37 offset0:69 offset1:83
	s_waitcnt lgkmcnt(0)
	v_lshrrev_b32_e32 v6, 16, v3
	s_waitcnt vmcnt(0)
	v_mul_f16_sdwa v7, v6, v5 dst_sel:DWORD dst_unused:UNUSED_PAD src0_sel:DWORD src1_sel:WORD_1
	v_mul_f16_sdwa v8, v3, v5 dst_sel:DWORD dst_unused:UNUSED_PAD src0_sel:DWORD src1_sel:WORD_1
	v_fmac_f16_e32 v7, v3, v5
	v_fma_f16 v3, v5, v6, -v8
	v_cvt_f32_f16_e32 v5, v7
	v_cvt_f32_f16_e32 v3, v3
	v_cvt_f64_f32_e32 v[5:6], v5
	v_cvt_f64_f32_e32 v[7:8], v3
	v_mul_f64 v[5:6], v[5:6], s[4:5]
	v_mul_f64 v[7:8], v[7:8], s[4:5]
	v_and_or_b32 v3, 0x1ff, v6, v5
	v_and_or_b32 v7, 0x1ff, v8, v7
	v_lshrrev_b32_e32 v5, 8, v6
	v_bfe_u32 v9, v6, 20, 11
	v_lshrrev_b32_e32 v10, 8, v8
	v_cmp_ne_u32_e32 vcc_lo, 0, v3
	v_bfe_u32 v11, v8, 20, 11
	v_lshrrev_b32_e32 v6, 16, v6
	v_sub_nc_u32_e32 v12, 0x3f1, v9
	v_add_nc_u32_e32 v16, 0xfffffc10, v9
	v_cndmask_b32_e64 v3, 0, 1, vcc_lo
	v_cmp_ne_u32_e32 vcc_lo, 0, v7
	v_lshrrev_b32_e32 v8, 16, v8
	v_and_or_b32 v3, 0xffe, v5, v3
	v_cndmask_b32_e64 v7, 0, 1, vcc_lo
	v_sub_nc_u32_e32 v5, 0x3f1, v11
	v_add_nc_u32_e32 v11, 0xfffffc10, v11
	v_and_or_b32 v7, 0xffe, v10, v7
	v_med3_i32 v10, v12, 0, 13
	v_or_b32_e32 v12, 0x1000, v3
	v_med3_i32 v5, v5, 0, 13
	v_or_b32_e32 v13, 0x1000, v7
	v_lshrrev_b32_e32 v14, v10, v12
	v_lshrrev_b32_e32 v15, v5, v13
	v_lshlrev_b32_e32 v10, v10, v14
	v_lshlrev_b32_e32 v5, v5, v15
	v_cmp_ne_u32_e32 vcc_lo, v10, v12
	v_mad_u64_u32 v[9:10], null, 0x114, s8, v[0:1]
	v_cndmask_b32_e64 v12, 0, 1, vcc_lo
	v_cmp_ne_u32_e32 vcc_lo, v5, v13
	v_lshl_or_b32 v13, v16, 12, v3
	v_or_b32_e32 v12, v14, v12
	v_cndmask_b32_e64 v5, 0, 1, vcc_lo
	v_cmp_gt_i32_e32 vcc_lo, 1, v16
	v_lshl_or_b32 v14, v11, 12, v7
	v_or_b32_e32 v5, v15, v5
	v_cndmask_b32_e32 v12, v13, v12, vcc_lo
	v_cmp_gt_i32_e32 vcc_lo, 1, v11
	v_and_b32_e32 v13, 7, v12
	v_cndmask_b32_e32 v5, v14, v5, vcc_lo
	v_cmp_ne_u32_e32 vcc_lo, 0, v3
	v_lshrrev_b32_e32 v12, 2, v12
	v_cmp_eq_u32_e64 s0, 3, v13
	v_and_b32_e32 v14, 7, v5
	v_cndmask_b32_e64 v3, 0, 1, vcc_lo
	v_cmp_ne_u32_e32 vcc_lo, 0, v7
	v_lshrrev_b32_e32 v5, 2, v5
	v_cmp_lt_i32_e64 s1, 5, v14
	v_cmp_eq_u32_e64 s2, 3, v14
	v_cndmask_b32_e64 v7, 0, 1, vcc_lo
	v_cmp_lt_i32_e32 vcc_lo, 5, v13
	v_lshl_or_b32 v3, v3, 9, 0x7c00
	v_lshl_or_b32 v7, v7, 9, 0x7c00
	s_or_b32 vcc_lo, s0, vcc_lo
	v_add_co_ci_u32_e32 v12, vcc_lo, 0, v12, vcc_lo
	s_or_b32 vcc_lo, s2, s1
	v_add_co_ci_u32_e32 v5, vcc_lo, 0, v5, vcc_lo
	v_cmp_gt_i32_e32 vcc_lo, 31, v16
	v_cndmask_b32_e32 v12, 0x7c00, v12, vcc_lo
	v_cmp_gt_i32_e32 vcc_lo, 31, v11
	v_cndmask_b32_e32 v5, 0x7c00, v5, vcc_lo
	v_cmp_eq_u32_e32 vcc_lo, 0x40f, v16
	v_cndmask_b32_e32 v12, v12, v3, vcc_lo
	v_cmp_eq_u32_e32 vcc_lo, 0x40f, v11
	v_mov_b32_e32 v3, v10
	v_and_or_b32 v10, 0x8000, v6, v12
	v_cndmask_b32_e32 v7, v5, v7, vcc_lo
	v_mad_u64_u32 v[5:6], null, 0x114, s9, v[3:4]
	v_and_b32_e32 v6, 0xffff, v10
	v_and_or_b32 v3, 0x8000, v8, v7
	v_mov_b32_e32 v10, v5
	v_lshl_or_b32 v3, v3, 16, v6
	v_lshrrev_b32_e32 v5, 16, v4
	global_store_dword v[9:10], v3, off
	global_load_dword v3, v2, s[6:7] offset:332
	s_waitcnt vmcnt(0)
	v_mul_f16_sdwa v6, v5, v3 dst_sel:DWORD dst_unused:UNUSED_PAD src0_sel:DWORD src1_sel:WORD_1
	v_mul_f16_sdwa v7, v4, v3 dst_sel:DWORD dst_unused:UNUSED_PAD src0_sel:DWORD src1_sel:WORD_1
	v_fmac_f16_e32 v6, v4, v3
	v_fma_f16 v3, v3, v5, -v7
	v_cvt_f32_f16_e32 v4, v6
	v_cvt_f32_f16_e32 v5, v3
	v_cvt_f64_f32_e32 v[3:4], v4
	v_cvt_f64_f32_e32 v[5:6], v5
	v_mul_f64 v[3:4], v[3:4], s[4:5]
	v_mul_f64 v[5:6], v[5:6], s[4:5]
	v_and_or_b32 v3, 0x1ff, v4, v3
	v_and_or_b32 v5, 0x1ff, v6, v5
	v_lshrrev_b32_e32 v7, 8, v4
	v_bfe_u32 v8, v4, 20, 11
	v_lshrrev_b32_e32 v9, 8, v6
	v_cmp_ne_u32_e32 vcc_lo, 0, v3
	v_bfe_u32 v10, v6, 20, 11
	v_lshrrev_b32_e32 v4, 16, v4
	v_sub_nc_u32_e32 v11, 0x3f1, v8
	v_add_nc_u32_e32 v15, 0xfffffc10, v8
	v_cndmask_b32_e64 v3, 0, 1, vcc_lo
	v_cmp_ne_u32_e32 vcc_lo, 0, v5
	v_lshrrev_b32_e32 v6, 16, v6
	v_and_or_b32 v3, 0xffe, v7, v3
	v_cndmask_b32_e64 v5, 0, 1, vcc_lo
	v_sub_nc_u32_e32 v7, 0x3f1, v10
	v_add_nc_u32_e32 v10, 0xfffffc10, v10
	v_and_or_b32 v5, 0xffe, v9, v5
	v_med3_i32 v9, v11, 0, 13
	v_or_b32_e32 v11, 0x1000, v3
	v_med3_i32 v7, v7, 0, 13
	v_or_b32_e32 v12, 0x1000, v5
	v_lshrrev_b32_e32 v13, v9, v11
	v_lshrrev_b32_e32 v14, v7, v12
	v_lshlrev_b32_e32 v9, v9, v13
	v_lshlrev_b32_e32 v7, v7, v14
	v_cmp_ne_u32_e32 vcc_lo, v9, v11
	v_cndmask_b32_e64 v9, 0, 1, vcc_lo
	v_cmp_ne_u32_e32 vcc_lo, v7, v12
	v_lshl_or_b32 v12, v15, 12, v3
	v_mad_u64_u32 v[7:8], null, 0x14c, s8, v[0:1]
	v_or_b32_e32 v9, v13, v9
	v_cndmask_b32_e64 v11, 0, 1, vcc_lo
	v_cmp_gt_i32_e32 vcc_lo, 1, v15
	v_lshl_or_b32 v13, v10, 12, v5
	v_or_b32_e32 v11, v14, v11
	v_cndmask_b32_e32 v9, v12, v9, vcc_lo
	v_cmp_gt_i32_e32 vcc_lo, 1, v10
	v_and_b32_e32 v12, 7, v9
	v_cndmask_b32_e32 v11, v13, v11, vcc_lo
	v_cmp_ne_u32_e32 vcc_lo, 0, v3
	v_lshrrev_b32_e32 v9, 2, v9
	v_cmp_eq_u32_e64 s0, 3, v12
	v_and_b32_e32 v13, 7, v11
	v_cndmask_b32_e64 v3, 0, 1, vcc_lo
	v_cmp_ne_u32_e32 vcc_lo, 0, v5
	v_lshrrev_b32_e32 v11, 2, v11
	v_cmp_lt_i32_e64 s1, 5, v13
	v_cmp_eq_u32_e64 s2, 3, v13
	v_cndmask_b32_e64 v5, 0, 1, vcc_lo
	v_cmp_lt_i32_e32 vcc_lo, 5, v12
	v_lshl_or_b32 v3, v3, 9, 0x7c00
	v_lshl_or_b32 v5, v5, 9, 0x7c00
	s_or_b32 vcc_lo, s0, vcc_lo
	v_add_co_ci_u32_e32 v9, vcc_lo, 0, v9, vcc_lo
	s_or_b32 vcc_lo, s2, s1
	v_add_co_ci_u32_e32 v11, vcc_lo, 0, v11, vcc_lo
	v_cmp_gt_i32_e32 vcc_lo, 31, v15
	v_cndmask_b32_e32 v9, 0x7c00, v9, vcc_lo
	v_cmp_gt_i32_e32 vcc_lo, 31, v10
	v_cndmask_b32_e32 v11, 0x7c00, v11, vcc_lo
	v_cmp_eq_u32_e32 vcc_lo, 0x40f, v15
	v_cndmask_b32_e32 v9, v9, v3, vcc_lo
	v_cmp_eq_u32_e32 vcc_lo, 0x40f, v10
	v_mov_b32_e32 v3, v8
	v_and_or_b32 v8, 0x8000, v4, v9
	v_cndmask_b32_e32 v5, v11, v5, vcc_lo
	v_mad_u64_u32 v[3:4], null, 0x14c, s9, v[3:4]
	v_and_or_b32 v4, 0x8000, v6, v5
	v_and_b32_e32 v5, 0xffff, v8
	v_mov_b32_e32 v8, v3
	v_lshl_or_b32 v3, v4, 16, v5
	global_store_dword v[7:8], v3, off
	global_load_dword v5, v2, s[6:7] offset:388
	ds_read2_b32 v[3:4], v37 offset0:97 offset1:111
	s_waitcnt lgkmcnt(0)
	v_lshrrev_b32_e32 v6, 16, v3
	s_waitcnt vmcnt(0)
	v_mul_f16_sdwa v7, v6, v5 dst_sel:DWORD dst_unused:UNUSED_PAD src0_sel:DWORD src1_sel:WORD_1
	v_mul_f16_sdwa v8, v3, v5 dst_sel:DWORD dst_unused:UNUSED_PAD src0_sel:DWORD src1_sel:WORD_1
	v_fmac_f16_e32 v7, v3, v5
	v_fma_f16 v3, v5, v6, -v8
	v_cvt_f32_f16_e32 v5, v7
	v_cvt_f32_f16_e32 v3, v3
	v_cvt_f64_f32_e32 v[5:6], v5
	v_cvt_f64_f32_e32 v[7:8], v3
	v_mul_f64 v[5:6], v[5:6], s[4:5]
	v_mul_f64 v[7:8], v[7:8], s[4:5]
	v_and_or_b32 v3, 0x1ff, v6, v5
	v_and_or_b32 v7, 0x1ff, v8, v7
	v_lshrrev_b32_e32 v5, 8, v6
	v_bfe_u32 v9, v6, 20, 11
	v_lshrrev_b32_e32 v10, 8, v8
	v_cmp_ne_u32_e32 vcc_lo, 0, v3
	v_bfe_u32 v11, v8, 20, 11
	v_lshrrev_b32_e32 v6, 16, v6
	v_sub_nc_u32_e32 v12, 0x3f1, v9
	v_add_nc_u32_e32 v16, 0xfffffc10, v9
	v_cndmask_b32_e64 v3, 0, 1, vcc_lo
	v_cmp_ne_u32_e32 vcc_lo, 0, v7
	v_lshrrev_b32_e32 v8, 16, v8
	v_and_or_b32 v3, 0xffe, v5, v3
	v_cndmask_b32_e64 v7, 0, 1, vcc_lo
	v_sub_nc_u32_e32 v5, 0x3f1, v11
	v_add_nc_u32_e32 v11, 0xfffffc10, v11
	v_and_or_b32 v7, 0xffe, v10, v7
	v_med3_i32 v10, v12, 0, 13
	v_or_b32_e32 v12, 0x1000, v3
	v_med3_i32 v5, v5, 0, 13
	v_or_b32_e32 v13, 0x1000, v7
	v_lshrrev_b32_e32 v14, v10, v12
	v_lshrrev_b32_e32 v15, v5, v13
	v_lshlrev_b32_e32 v10, v10, v14
	v_lshlrev_b32_e32 v5, v5, v15
	v_cmp_ne_u32_e32 vcc_lo, v10, v12
	v_mad_u64_u32 v[9:10], null, 0x184, s8, v[0:1]
	v_cndmask_b32_e64 v12, 0, 1, vcc_lo
	v_cmp_ne_u32_e32 vcc_lo, v5, v13
	v_lshl_or_b32 v13, v16, 12, v3
	v_or_b32_e32 v12, v14, v12
	v_cndmask_b32_e64 v5, 0, 1, vcc_lo
	v_cmp_gt_i32_e32 vcc_lo, 1, v16
	v_lshl_or_b32 v14, v11, 12, v7
	v_or_b32_e32 v5, v15, v5
	v_cndmask_b32_e32 v12, v13, v12, vcc_lo
	v_cmp_gt_i32_e32 vcc_lo, 1, v11
	v_and_b32_e32 v13, 7, v12
	v_cndmask_b32_e32 v5, v14, v5, vcc_lo
	v_cmp_ne_u32_e32 vcc_lo, 0, v3
	v_lshrrev_b32_e32 v12, 2, v12
	v_cmp_eq_u32_e64 s0, 3, v13
	v_and_b32_e32 v14, 7, v5
	v_cndmask_b32_e64 v3, 0, 1, vcc_lo
	v_cmp_ne_u32_e32 vcc_lo, 0, v7
	v_lshrrev_b32_e32 v5, 2, v5
	v_cmp_lt_i32_e64 s1, 5, v14
	v_cmp_eq_u32_e64 s2, 3, v14
	v_cndmask_b32_e64 v7, 0, 1, vcc_lo
	v_cmp_lt_i32_e32 vcc_lo, 5, v13
	v_lshl_or_b32 v3, v3, 9, 0x7c00
	v_lshl_or_b32 v7, v7, 9, 0x7c00
	s_or_b32 vcc_lo, s0, vcc_lo
	v_add_co_ci_u32_e32 v12, vcc_lo, 0, v12, vcc_lo
	s_or_b32 vcc_lo, s2, s1
	v_add_co_ci_u32_e32 v5, vcc_lo, 0, v5, vcc_lo
	v_cmp_gt_i32_e32 vcc_lo, 31, v16
	v_cndmask_b32_e32 v12, 0x7c00, v12, vcc_lo
	v_cmp_gt_i32_e32 vcc_lo, 31, v11
	v_cndmask_b32_e32 v5, 0x7c00, v5, vcc_lo
	v_cmp_eq_u32_e32 vcc_lo, 0x40f, v16
	v_cndmask_b32_e32 v12, v12, v3, vcc_lo
	v_cmp_eq_u32_e32 vcc_lo, 0x40f, v11
	v_mov_b32_e32 v3, v10
	v_and_or_b32 v10, 0x8000, v6, v12
	v_cndmask_b32_e32 v7, v5, v7, vcc_lo
	v_mad_u64_u32 v[5:6], null, 0x184, s9, v[3:4]
	v_and_b32_e32 v6, 0xffff, v10
	v_and_or_b32 v3, 0x8000, v8, v7
	v_mov_b32_e32 v10, v5
	v_lshl_or_b32 v3, v3, 16, v6
	v_lshrrev_b32_e32 v5, 16, v4
	global_store_dword v[9:10], v3, off
	global_load_dword v3, v2, s[6:7] offset:444
	s_waitcnt vmcnt(0)
	v_mul_f16_sdwa v6, v5, v3 dst_sel:DWORD dst_unused:UNUSED_PAD src0_sel:DWORD src1_sel:WORD_1
	v_mul_f16_sdwa v7, v4, v3 dst_sel:DWORD dst_unused:UNUSED_PAD src0_sel:DWORD src1_sel:WORD_1
	v_fmac_f16_e32 v6, v4, v3
	v_fma_f16 v3, v3, v5, -v7
	v_cvt_f32_f16_e32 v4, v6
	v_cvt_f32_f16_e32 v5, v3
	v_cvt_f64_f32_e32 v[3:4], v4
	v_cvt_f64_f32_e32 v[5:6], v5
	v_mul_f64 v[3:4], v[3:4], s[4:5]
	v_mul_f64 v[5:6], v[5:6], s[4:5]
	v_and_or_b32 v3, 0x1ff, v4, v3
	v_and_or_b32 v5, 0x1ff, v6, v5
	v_lshrrev_b32_e32 v7, 8, v4
	v_bfe_u32 v8, v4, 20, 11
	v_lshrrev_b32_e32 v9, 8, v6
	v_cmp_ne_u32_e32 vcc_lo, 0, v3
	v_bfe_u32 v10, v6, 20, 11
	v_lshrrev_b32_e32 v4, 16, v4
	v_sub_nc_u32_e32 v11, 0x3f1, v8
	v_add_nc_u32_e32 v15, 0xfffffc10, v8
	v_cndmask_b32_e64 v3, 0, 1, vcc_lo
	v_cmp_ne_u32_e32 vcc_lo, 0, v5
	v_lshrrev_b32_e32 v6, 16, v6
	v_and_or_b32 v3, 0xffe, v7, v3
	v_cndmask_b32_e64 v5, 0, 1, vcc_lo
	v_sub_nc_u32_e32 v7, 0x3f1, v10
	v_add_nc_u32_e32 v10, 0xfffffc10, v10
	v_and_or_b32 v5, 0xffe, v9, v5
	v_med3_i32 v9, v11, 0, 13
	v_or_b32_e32 v11, 0x1000, v3
	v_med3_i32 v7, v7, 0, 13
	v_or_b32_e32 v12, 0x1000, v5
	v_lshrrev_b32_e32 v13, v9, v11
	v_lshrrev_b32_e32 v14, v7, v12
	v_lshlrev_b32_e32 v9, v9, v13
	v_lshlrev_b32_e32 v7, v7, v14
	v_cmp_ne_u32_e32 vcc_lo, v9, v11
	v_cndmask_b32_e64 v9, 0, 1, vcc_lo
	v_cmp_ne_u32_e32 vcc_lo, v7, v12
	v_lshl_or_b32 v12, v15, 12, v3
	v_mad_u64_u32 v[7:8], null, 0x1bc, s8, v[0:1]
	v_or_b32_e32 v9, v13, v9
	v_cndmask_b32_e64 v11, 0, 1, vcc_lo
	v_cmp_gt_i32_e32 vcc_lo, 1, v15
	v_lshl_or_b32 v13, v10, 12, v5
	v_or_b32_e32 v11, v14, v11
	v_cndmask_b32_e32 v9, v12, v9, vcc_lo
	v_cmp_gt_i32_e32 vcc_lo, 1, v10
	v_and_b32_e32 v12, 7, v9
	v_cndmask_b32_e32 v11, v13, v11, vcc_lo
	v_cmp_ne_u32_e32 vcc_lo, 0, v3
	v_lshrrev_b32_e32 v9, 2, v9
	v_cmp_eq_u32_e64 s0, 3, v12
	v_and_b32_e32 v13, 7, v11
	v_cndmask_b32_e64 v3, 0, 1, vcc_lo
	v_cmp_ne_u32_e32 vcc_lo, 0, v5
	v_lshrrev_b32_e32 v11, 2, v11
	v_cmp_lt_i32_e64 s1, 5, v13
	v_cmp_eq_u32_e64 s2, 3, v13
	v_cndmask_b32_e64 v5, 0, 1, vcc_lo
	v_cmp_lt_i32_e32 vcc_lo, 5, v12
	v_lshl_or_b32 v3, v3, 9, 0x7c00
	v_lshl_or_b32 v5, v5, 9, 0x7c00
	s_or_b32 vcc_lo, s0, vcc_lo
	v_add_co_ci_u32_e32 v9, vcc_lo, 0, v9, vcc_lo
	s_or_b32 vcc_lo, s2, s1
	v_add_co_ci_u32_e32 v11, vcc_lo, 0, v11, vcc_lo
	v_cmp_gt_i32_e32 vcc_lo, 31, v15
	v_cndmask_b32_e32 v9, 0x7c00, v9, vcc_lo
	v_cmp_gt_i32_e32 vcc_lo, 31, v10
	v_cndmask_b32_e32 v11, 0x7c00, v11, vcc_lo
	v_cmp_eq_u32_e32 vcc_lo, 0x40f, v15
	v_cndmask_b32_e32 v9, v9, v3, vcc_lo
	v_cmp_eq_u32_e32 vcc_lo, 0x40f, v10
	v_mov_b32_e32 v3, v8
	v_and_or_b32 v8, 0x8000, v4, v9
	v_cndmask_b32_e32 v5, v11, v5, vcc_lo
	v_mad_u64_u32 v[3:4], null, 0x1bc, s9, v[3:4]
	v_and_or_b32 v4, 0x8000, v6, v5
	v_and_b32_e32 v5, 0xffff, v8
	v_mov_b32_e32 v8, v3
	v_lshl_or_b32 v3, v4, 16, v5
	global_store_dword v[7:8], v3, off
	global_load_dword v5, v2, s[6:7] offset:500
	ds_read2_b32 v[3:4], v37 offset0:125 offset1:139
	s_waitcnt lgkmcnt(0)
	v_lshrrev_b32_e32 v6, 16, v3
	s_waitcnt vmcnt(0)
	v_mul_f16_sdwa v7, v6, v5 dst_sel:DWORD dst_unused:UNUSED_PAD src0_sel:DWORD src1_sel:WORD_1
	v_mul_f16_sdwa v8, v3, v5 dst_sel:DWORD dst_unused:UNUSED_PAD src0_sel:DWORD src1_sel:WORD_1
	v_fmac_f16_e32 v7, v3, v5
	v_fma_f16 v3, v5, v6, -v8
	v_cvt_f32_f16_e32 v5, v7
	v_cvt_f32_f16_e32 v3, v3
	v_cvt_f64_f32_e32 v[5:6], v5
	v_cvt_f64_f32_e32 v[7:8], v3
	v_mul_f64 v[5:6], v[5:6], s[4:5]
	v_mul_f64 v[7:8], v[7:8], s[4:5]
	v_and_or_b32 v3, 0x1ff, v6, v5
	v_and_or_b32 v7, 0x1ff, v8, v7
	v_lshrrev_b32_e32 v5, 8, v6
	v_bfe_u32 v9, v6, 20, 11
	v_lshrrev_b32_e32 v10, 8, v8
	v_cmp_ne_u32_e32 vcc_lo, 0, v3
	v_bfe_u32 v11, v8, 20, 11
	v_lshrrev_b32_e32 v6, 16, v6
	v_sub_nc_u32_e32 v12, 0x3f1, v9
	v_add_nc_u32_e32 v16, 0xfffffc10, v9
	v_cndmask_b32_e64 v3, 0, 1, vcc_lo
	v_cmp_ne_u32_e32 vcc_lo, 0, v7
	v_lshrrev_b32_e32 v8, 16, v8
	v_and_or_b32 v3, 0xffe, v5, v3
	v_cndmask_b32_e64 v7, 0, 1, vcc_lo
	v_sub_nc_u32_e32 v5, 0x3f1, v11
	v_add_nc_u32_e32 v11, 0xfffffc10, v11
	v_and_or_b32 v7, 0xffe, v10, v7
	v_med3_i32 v10, v12, 0, 13
	v_or_b32_e32 v12, 0x1000, v3
	v_med3_i32 v5, v5, 0, 13
	v_or_b32_e32 v13, 0x1000, v7
	v_lshrrev_b32_e32 v14, v10, v12
	v_lshrrev_b32_e32 v15, v5, v13
	v_lshlrev_b32_e32 v10, v10, v14
	v_lshlrev_b32_e32 v5, v5, v15
	v_cmp_ne_u32_e32 vcc_lo, v10, v12
	v_mad_u64_u32 v[9:10], null, 0x1f4, s8, v[0:1]
	v_cndmask_b32_e64 v12, 0, 1, vcc_lo
	v_cmp_ne_u32_e32 vcc_lo, v5, v13
	v_lshl_or_b32 v13, v16, 12, v3
	v_or_b32_e32 v12, v14, v12
	v_cndmask_b32_e64 v5, 0, 1, vcc_lo
	v_cmp_gt_i32_e32 vcc_lo, 1, v16
	v_lshl_or_b32 v14, v11, 12, v7
	v_or_b32_e32 v5, v15, v5
	v_cndmask_b32_e32 v12, v13, v12, vcc_lo
	v_cmp_gt_i32_e32 vcc_lo, 1, v11
	v_and_b32_e32 v13, 7, v12
	v_cndmask_b32_e32 v5, v14, v5, vcc_lo
	v_cmp_ne_u32_e32 vcc_lo, 0, v3
	v_lshrrev_b32_e32 v12, 2, v12
	v_cmp_eq_u32_e64 s0, 3, v13
	v_and_b32_e32 v14, 7, v5
	v_cndmask_b32_e64 v3, 0, 1, vcc_lo
	v_cmp_ne_u32_e32 vcc_lo, 0, v7
	v_lshrrev_b32_e32 v5, 2, v5
	v_cmp_lt_i32_e64 s1, 5, v14
	v_cmp_eq_u32_e64 s2, 3, v14
	v_cndmask_b32_e64 v7, 0, 1, vcc_lo
	v_cmp_lt_i32_e32 vcc_lo, 5, v13
	v_lshl_or_b32 v3, v3, 9, 0x7c00
	v_lshl_or_b32 v7, v7, 9, 0x7c00
	s_or_b32 vcc_lo, s0, vcc_lo
	v_add_co_ci_u32_e32 v12, vcc_lo, 0, v12, vcc_lo
	s_or_b32 vcc_lo, s2, s1
	v_add_co_ci_u32_e32 v5, vcc_lo, 0, v5, vcc_lo
	v_cmp_gt_i32_e32 vcc_lo, 31, v16
	v_cndmask_b32_e32 v12, 0x7c00, v12, vcc_lo
	v_cmp_gt_i32_e32 vcc_lo, 31, v11
	v_cndmask_b32_e32 v5, 0x7c00, v5, vcc_lo
	v_cmp_eq_u32_e32 vcc_lo, 0x40f, v16
	v_cndmask_b32_e32 v12, v12, v3, vcc_lo
	v_cmp_eq_u32_e32 vcc_lo, 0x40f, v11
	v_mov_b32_e32 v3, v10
	v_and_or_b32 v10, 0x8000, v6, v12
	v_cndmask_b32_e32 v7, v5, v7, vcc_lo
	v_mad_u64_u32 v[5:6], null, 0x1f4, s9, v[3:4]
	v_and_b32_e32 v6, 0xffff, v10
	v_and_or_b32 v3, 0x8000, v8, v7
	v_mov_b32_e32 v10, v5
	v_lshl_or_b32 v3, v3, 16, v6
	v_lshrrev_b32_e32 v5, 16, v4
	global_store_dword v[9:10], v3, off
	global_load_dword v3, v2, s[6:7] offset:556
	s_waitcnt vmcnt(0)
	v_mul_f16_sdwa v6, v5, v3 dst_sel:DWORD dst_unused:UNUSED_PAD src0_sel:DWORD src1_sel:WORD_1
	v_mul_f16_sdwa v7, v4, v3 dst_sel:DWORD dst_unused:UNUSED_PAD src0_sel:DWORD src1_sel:WORD_1
	v_fmac_f16_e32 v6, v4, v3
	v_fma_f16 v3, v3, v5, -v7
	v_cvt_f32_f16_e32 v4, v6
	v_cvt_f32_f16_e32 v5, v3
	v_cvt_f64_f32_e32 v[3:4], v4
	v_cvt_f64_f32_e32 v[5:6], v5
	v_mul_f64 v[3:4], v[3:4], s[4:5]
	v_mul_f64 v[5:6], v[5:6], s[4:5]
	v_and_or_b32 v3, 0x1ff, v4, v3
	v_and_or_b32 v5, 0x1ff, v6, v5
	v_lshrrev_b32_e32 v7, 8, v4
	v_bfe_u32 v8, v4, 20, 11
	v_lshrrev_b32_e32 v9, 8, v6
	v_cmp_ne_u32_e32 vcc_lo, 0, v3
	v_bfe_u32 v10, v6, 20, 11
	v_lshrrev_b32_e32 v4, 16, v4
	v_sub_nc_u32_e32 v11, 0x3f1, v8
	v_add_nc_u32_e32 v15, 0xfffffc10, v8
	v_cndmask_b32_e64 v3, 0, 1, vcc_lo
	v_cmp_ne_u32_e32 vcc_lo, 0, v5
	v_lshrrev_b32_e32 v6, 16, v6
	v_and_or_b32 v3, 0xffe, v7, v3
	v_cndmask_b32_e64 v5, 0, 1, vcc_lo
	v_sub_nc_u32_e32 v7, 0x3f1, v10
	v_add_nc_u32_e32 v10, 0xfffffc10, v10
	v_and_or_b32 v5, 0xffe, v9, v5
	v_med3_i32 v9, v11, 0, 13
	v_or_b32_e32 v11, 0x1000, v3
	v_med3_i32 v7, v7, 0, 13
	v_or_b32_e32 v12, 0x1000, v5
	v_lshrrev_b32_e32 v13, v9, v11
	v_lshrrev_b32_e32 v14, v7, v12
	v_lshlrev_b32_e32 v9, v9, v13
	v_lshlrev_b32_e32 v7, v7, v14
	v_cmp_ne_u32_e32 vcc_lo, v9, v11
	v_cndmask_b32_e64 v9, 0, 1, vcc_lo
	v_cmp_ne_u32_e32 vcc_lo, v7, v12
	v_lshl_or_b32 v12, v15, 12, v3
	v_mad_u64_u32 v[7:8], null, 0x22c, s8, v[0:1]
	v_or_b32_e32 v9, v13, v9
	v_cndmask_b32_e64 v11, 0, 1, vcc_lo
	v_cmp_gt_i32_e32 vcc_lo, 1, v15
	v_lshl_or_b32 v13, v10, 12, v5
	v_or_b32_e32 v11, v14, v11
	v_cndmask_b32_e32 v9, v12, v9, vcc_lo
	v_cmp_gt_i32_e32 vcc_lo, 1, v10
	v_and_b32_e32 v12, 7, v9
	v_cndmask_b32_e32 v11, v13, v11, vcc_lo
	v_cmp_ne_u32_e32 vcc_lo, 0, v3
	v_lshrrev_b32_e32 v9, 2, v9
	v_cmp_eq_u32_e64 s0, 3, v12
	v_and_b32_e32 v13, 7, v11
	v_cndmask_b32_e64 v3, 0, 1, vcc_lo
	v_cmp_ne_u32_e32 vcc_lo, 0, v5
	v_lshrrev_b32_e32 v11, 2, v11
	v_cmp_lt_i32_e64 s1, 5, v13
	v_cmp_eq_u32_e64 s2, 3, v13
	v_cndmask_b32_e64 v5, 0, 1, vcc_lo
	v_cmp_lt_i32_e32 vcc_lo, 5, v12
	v_lshl_or_b32 v3, v3, 9, 0x7c00
	v_lshl_or_b32 v5, v5, 9, 0x7c00
	s_or_b32 vcc_lo, s0, vcc_lo
	v_add_co_ci_u32_e32 v9, vcc_lo, 0, v9, vcc_lo
	s_or_b32 vcc_lo, s2, s1
	v_add_co_ci_u32_e32 v11, vcc_lo, 0, v11, vcc_lo
	v_cmp_gt_i32_e32 vcc_lo, 31, v15
	v_cndmask_b32_e32 v9, 0x7c00, v9, vcc_lo
	v_cmp_gt_i32_e32 vcc_lo, 31, v10
	v_cndmask_b32_e32 v11, 0x7c00, v11, vcc_lo
	v_cmp_eq_u32_e32 vcc_lo, 0x40f, v15
	v_cndmask_b32_e32 v9, v9, v3, vcc_lo
	v_cmp_eq_u32_e32 vcc_lo, 0x40f, v10
	v_mov_b32_e32 v3, v8
	v_and_or_b32 v8, 0x8000, v4, v9
	v_cndmask_b32_e32 v5, v11, v5, vcc_lo
	v_mad_u64_u32 v[3:4], null, 0x22c, s9, v[3:4]
	v_and_or_b32 v4, 0x8000, v6, v5
	v_and_b32_e32 v5, 0xffff, v8
	v_mov_b32_e32 v8, v3
	v_lshl_or_b32 v3, v4, 16, v5
	global_store_dword v[7:8], v3, off
	global_load_dword v5, v2, s[6:7] offset:612
	ds_read2_b32 v[3:4], v37 offset0:153 offset1:167
	s_waitcnt lgkmcnt(0)
	v_lshrrev_b32_e32 v6, 16, v3
	s_waitcnt vmcnt(0)
	v_mul_f16_sdwa v7, v6, v5 dst_sel:DWORD dst_unused:UNUSED_PAD src0_sel:DWORD src1_sel:WORD_1
	v_mul_f16_sdwa v8, v3, v5 dst_sel:DWORD dst_unused:UNUSED_PAD src0_sel:DWORD src1_sel:WORD_1
	v_fmac_f16_e32 v7, v3, v5
	v_fma_f16 v3, v5, v6, -v8
	v_cvt_f32_f16_e32 v5, v7
	v_cvt_f32_f16_e32 v3, v3
	v_cvt_f64_f32_e32 v[5:6], v5
	v_cvt_f64_f32_e32 v[7:8], v3
	v_mul_f64 v[5:6], v[5:6], s[4:5]
	v_mul_f64 v[7:8], v[7:8], s[4:5]
	v_and_or_b32 v3, 0x1ff, v6, v5
	v_and_or_b32 v7, 0x1ff, v8, v7
	v_lshrrev_b32_e32 v5, 8, v6
	v_bfe_u32 v9, v6, 20, 11
	v_lshrrev_b32_e32 v10, 8, v8
	v_cmp_ne_u32_e32 vcc_lo, 0, v3
	v_bfe_u32 v11, v8, 20, 11
	v_lshrrev_b32_e32 v6, 16, v6
	v_sub_nc_u32_e32 v12, 0x3f1, v9
	v_add_nc_u32_e32 v16, 0xfffffc10, v9
	v_cndmask_b32_e64 v3, 0, 1, vcc_lo
	v_cmp_ne_u32_e32 vcc_lo, 0, v7
	v_lshrrev_b32_e32 v8, 16, v8
	v_and_or_b32 v3, 0xffe, v5, v3
	v_cndmask_b32_e64 v7, 0, 1, vcc_lo
	v_sub_nc_u32_e32 v5, 0x3f1, v11
	v_add_nc_u32_e32 v11, 0xfffffc10, v11
	v_and_or_b32 v7, 0xffe, v10, v7
	v_med3_i32 v10, v12, 0, 13
	v_or_b32_e32 v12, 0x1000, v3
	v_med3_i32 v5, v5, 0, 13
	v_or_b32_e32 v13, 0x1000, v7
	v_lshrrev_b32_e32 v14, v10, v12
	v_lshrrev_b32_e32 v15, v5, v13
	v_lshlrev_b32_e32 v10, v10, v14
	v_lshlrev_b32_e32 v5, v5, v15
	v_cmp_ne_u32_e32 vcc_lo, v10, v12
	v_mad_u64_u32 v[9:10], null, 0x264, s8, v[0:1]
	v_cndmask_b32_e64 v12, 0, 1, vcc_lo
	v_cmp_ne_u32_e32 vcc_lo, v5, v13
	v_lshl_or_b32 v13, v16, 12, v3
	v_or_b32_e32 v12, v14, v12
	v_cndmask_b32_e64 v5, 0, 1, vcc_lo
	v_cmp_gt_i32_e32 vcc_lo, 1, v16
	v_lshl_or_b32 v14, v11, 12, v7
	v_or_b32_e32 v5, v15, v5
	v_cndmask_b32_e32 v12, v13, v12, vcc_lo
	v_cmp_gt_i32_e32 vcc_lo, 1, v11
	v_and_b32_e32 v13, 7, v12
	v_cndmask_b32_e32 v5, v14, v5, vcc_lo
	v_cmp_ne_u32_e32 vcc_lo, 0, v3
	v_lshrrev_b32_e32 v12, 2, v12
	v_cmp_eq_u32_e64 s0, 3, v13
	v_and_b32_e32 v14, 7, v5
	v_cndmask_b32_e64 v3, 0, 1, vcc_lo
	v_cmp_ne_u32_e32 vcc_lo, 0, v7
	v_lshrrev_b32_e32 v5, 2, v5
	v_cmp_lt_i32_e64 s1, 5, v14
	v_cmp_eq_u32_e64 s2, 3, v14
	v_cndmask_b32_e64 v7, 0, 1, vcc_lo
	v_cmp_lt_i32_e32 vcc_lo, 5, v13
	v_lshl_or_b32 v3, v3, 9, 0x7c00
	v_lshl_or_b32 v7, v7, 9, 0x7c00
	s_or_b32 vcc_lo, s0, vcc_lo
	v_add_co_ci_u32_e32 v12, vcc_lo, 0, v12, vcc_lo
	s_or_b32 vcc_lo, s2, s1
	v_add_co_ci_u32_e32 v5, vcc_lo, 0, v5, vcc_lo
	v_cmp_gt_i32_e32 vcc_lo, 31, v16
	v_cndmask_b32_e32 v12, 0x7c00, v12, vcc_lo
	v_cmp_gt_i32_e32 vcc_lo, 31, v11
	v_cndmask_b32_e32 v5, 0x7c00, v5, vcc_lo
	v_cmp_eq_u32_e32 vcc_lo, 0x40f, v16
	v_cndmask_b32_e32 v12, v12, v3, vcc_lo
	v_cmp_eq_u32_e32 vcc_lo, 0x40f, v11
	v_mov_b32_e32 v3, v10
	v_and_or_b32 v10, 0x8000, v6, v12
	v_cndmask_b32_e32 v7, v5, v7, vcc_lo
	v_mad_u64_u32 v[5:6], null, 0x264, s9, v[3:4]
	v_and_b32_e32 v6, 0xffff, v10
	v_and_or_b32 v3, 0x8000, v8, v7
	v_mov_b32_e32 v10, v5
	v_lshl_or_b32 v3, v3, 16, v6
	v_lshrrev_b32_e32 v5, 16, v4
	global_store_dword v[9:10], v3, off
	global_load_dword v3, v2, s[6:7] offset:668
	s_waitcnt vmcnt(0)
	v_mul_f16_sdwa v6, v5, v3 dst_sel:DWORD dst_unused:UNUSED_PAD src0_sel:DWORD src1_sel:WORD_1
	v_mul_f16_sdwa v7, v4, v3 dst_sel:DWORD dst_unused:UNUSED_PAD src0_sel:DWORD src1_sel:WORD_1
	v_fmac_f16_e32 v6, v4, v3
	v_fma_f16 v3, v3, v5, -v7
	v_cvt_f32_f16_e32 v4, v6
	v_cvt_f32_f16_e32 v5, v3
	v_cvt_f64_f32_e32 v[3:4], v4
	v_cvt_f64_f32_e32 v[5:6], v5
	v_mul_f64 v[3:4], v[3:4], s[4:5]
	v_mul_f64 v[5:6], v[5:6], s[4:5]
	v_and_or_b32 v3, 0x1ff, v4, v3
	v_and_or_b32 v5, 0x1ff, v6, v5
	v_lshrrev_b32_e32 v7, 8, v4
	v_bfe_u32 v8, v4, 20, 11
	v_lshrrev_b32_e32 v9, 8, v6
	v_cmp_ne_u32_e32 vcc_lo, 0, v3
	v_bfe_u32 v10, v6, 20, 11
	v_lshrrev_b32_e32 v4, 16, v4
	v_sub_nc_u32_e32 v11, 0x3f1, v8
	v_add_nc_u32_e32 v15, 0xfffffc10, v8
	v_cndmask_b32_e64 v3, 0, 1, vcc_lo
	v_cmp_ne_u32_e32 vcc_lo, 0, v5
	v_lshrrev_b32_e32 v6, 16, v6
	v_and_or_b32 v3, 0xffe, v7, v3
	v_cndmask_b32_e64 v5, 0, 1, vcc_lo
	v_sub_nc_u32_e32 v7, 0x3f1, v10
	v_add_nc_u32_e32 v10, 0xfffffc10, v10
	v_and_or_b32 v5, 0xffe, v9, v5
	v_med3_i32 v9, v11, 0, 13
	v_or_b32_e32 v11, 0x1000, v3
	v_med3_i32 v7, v7, 0, 13
	v_or_b32_e32 v12, 0x1000, v5
	v_lshrrev_b32_e32 v13, v9, v11
	v_lshrrev_b32_e32 v14, v7, v12
	v_lshlrev_b32_e32 v9, v9, v13
	v_lshlrev_b32_e32 v7, v7, v14
	v_cmp_ne_u32_e32 vcc_lo, v9, v11
	v_cndmask_b32_e64 v9, 0, 1, vcc_lo
	v_cmp_ne_u32_e32 vcc_lo, v7, v12
	v_lshl_or_b32 v12, v15, 12, v3
	v_mad_u64_u32 v[7:8], null, 0x29c, s8, v[0:1]
	v_or_b32_e32 v9, v13, v9
	v_cndmask_b32_e64 v11, 0, 1, vcc_lo
	v_cmp_gt_i32_e32 vcc_lo, 1, v15
	v_lshl_or_b32 v13, v10, 12, v5
	v_mad_u64_u32 v[0:1], null, 0x2d4, s8, v[0:1]
	v_or_b32_e32 v11, v14, v11
	v_cndmask_b32_e32 v9, v12, v9, vcc_lo
	v_cmp_gt_i32_e32 vcc_lo, 1, v10
	v_and_b32_e32 v12, 7, v9
	v_cndmask_b32_e32 v11, v13, v11, vcc_lo
	v_cmp_ne_u32_e32 vcc_lo, 0, v3
	v_lshrrev_b32_e32 v9, 2, v9
	v_cmp_eq_u32_e64 s0, 3, v12
	v_and_b32_e32 v13, 7, v11
	v_cndmask_b32_e64 v3, 0, 1, vcc_lo
	v_cmp_ne_u32_e32 vcc_lo, 0, v5
	v_lshrrev_b32_e32 v11, 2, v11
	v_cmp_lt_i32_e64 s1, 5, v13
	v_cmp_eq_u32_e64 s2, 3, v13
	v_cndmask_b32_e64 v5, 0, 1, vcc_lo
	v_cmp_lt_i32_e32 vcc_lo, 5, v12
	v_lshl_or_b32 v3, v3, 9, 0x7c00
	v_lshl_or_b32 v5, v5, 9, 0x7c00
	s_or_b32 vcc_lo, s0, vcc_lo
	v_add_co_ci_u32_e32 v9, vcc_lo, 0, v9, vcc_lo
	s_or_b32 vcc_lo, s2, s1
	v_add_co_ci_u32_e32 v11, vcc_lo, 0, v11, vcc_lo
	v_cmp_gt_i32_e32 vcc_lo, 31, v15
	v_cndmask_b32_e32 v9, 0x7c00, v9, vcc_lo
	v_cmp_gt_i32_e32 vcc_lo, 31, v10
	v_cndmask_b32_e32 v11, 0x7c00, v11, vcc_lo
	v_cmp_eq_u32_e32 vcc_lo, 0x40f, v15
	v_cndmask_b32_e32 v9, v9, v3, vcc_lo
	v_cmp_eq_u32_e32 vcc_lo, 0x40f, v10
	v_mov_b32_e32 v3, v8
	v_and_or_b32 v8, 0x8000, v4, v9
	v_cndmask_b32_e32 v5, v11, v5, vcc_lo
	v_mad_u64_u32 v[3:4], null, 0x29c, s9, v[3:4]
	v_and_or_b32 v4, 0x8000, v6, v5
	v_and_b32_e32 v5, 0xffff, v8
	v_mov_b32_e32 v8, v3
	v_lshl_or_b32 v3, v4, 16, v5
	global_store_dword v[7:8], v3, off
	global_load_dword v2, v2, s[6:7] offset:724
	ds_read_b32 v3, v37 offset:724
	s_waitcnt lgkmcnt(0)
	v_lshrrev_b32_e32 v4, 16, v3
	s_waitcnt vmcnt(0)
	v_mul_f16_sdwa v5, v4, v2 dst_sel:DWORD dst_unused:UNUSED_PAD src0_sel:DWORD src1_sel:WORD_1
	v_mul_f16_sdwa v6, v3, v2 dst_sel:DWORD dst_unused:UNUSED_PAD src0_sel:DWORD src1_sel:WORD_1
	v_fmac_f16_e32 v5, v3, v2
	v_fma_f16 v2, v2, v4, -v6
	v_cvt_f32_f16_e32 v3, v5
	v_cvt_f32_f16_e32 v4, v2
	v_cvt_f64_f32_e32 v[2:3], v3
	v_cvt_f64_f32_e32 v[4:5], v4
	v_mul_f64 v[2:3], v[2:3], s[4:5]
	v_mul_f64 v[4:5], v[4:5], s[4:5]
	v_and_or_b32 v2, 0x1ff, v3, v2
	v_and_or_b32 v4, 0x1ff, v5, v4
	v_lshrrev_b32_e32 v6, 8, v3
	v_bfe_u32 v7, v3, 20, 11
	v_lshrrev_b32_e32 v8, 8, v5
	v_cmp_ne_u32_e32 vcc_lo, 0, v2
	v_bfe_u32 v9, v5, 20, 11
	v_lshrrev_b32_e32 v3, 16, v3
	v_sub_nc_u32_e32 v10, 0x3f1, v7
	v_add_nc_u32_e32 v7, 0xfffffc10, v7
	v_cndmask_b32_e64 v2, 0, 1, vcc_lo
	v_cmp_ne_u32_e32 vcc_lo, 0, v4
	v_lshrrev_b32_e32 v5, 16, v5
	v_and_or_b32 v2, 0xffe, v6, v2
	v_cndmask_b32_e64 v4, 0, 1, vcc_lo
	v_sub_nc_u32_e32 v6, 0x3f1, v9
	v_add_nc_u32_e32 v9, 0xfffffc10, v9
	v_and_or_b32 v4, 0xffe, v8, v4
	v_med3_i32 v8, v10, 0, 13
	v_or_b32_e32 v10, 0x1000, v2
	v_med3_i32 v6, v6, 0, 13
	v_or_b32_e32 v11, 0x1000, v4
	v_lshrrev_b32_e32 v12, v8, v10
	v_lshrrev_b32_e32 v13, v6, v11
	v_lshlrev_b32_e32 v8, v8, v12
	v_lshlrev_b32_e32 v6, v6, v13
	v_cmp_ne_u32_e32 vcc_lo, v8, v10
	v_lshl_or_b32 v10, v7, 12, v2
	v_cndmask_b32_e64 v8, 0, 1, vcc_lo
	v_cmp_ne_u32_e32 vcc_lo, v6, v11
	v_lshl_or_b32 v11, v9, 12, v4
	v_or_b32_e32 v8, v12, v8
	v_cndmask_b32_e64 v6, 0, 1, vcc_lo
	v_cmp_gt_i32_e32 vcc_lo, 1, v7
	v_or_b32_e32 v6, v13, v6
	v_cndmask_b32_e32 v8, v10, v8, vcc_lo
	v_cmp_gt_i32_e32 vcc_lo, 1, v9
	v_and_b32_e32 v10, 7, v8
	v_cndmask_b32_e32 v6, v11, v6, vcc_lo
	v_cmp_ne_u32_e32 vcc_lo, 0, v2
	v_lshrrev_b32_e32 v8, 2, v8
	v_cmp_eq_u32_e64 s0, 3, v10
	v_and_b32_e32 v11, 7, v6
	v_cndmask_b32_e64 v2, 0, 1, vcc_lo
	v_cmp_ne_u32_e32 vcc_lo, 0, v4
	v_lshrrev_b32_e32 v6, 2, v6
	v_cmp_lt_i32_e64 s1, 5, v11
	v_cmp_eq_u32_e64 s2, 3, v11
	v_cndmask_b32_e64 v4, 0, 1, vcc_lo
	v_cmp_lt_i32_e32 vcc_lo, 5, v10
	v_lshl_or_b32 v2, v2, 9, 0x7c00
	v_lshl_or_b32 v4, v4, 9, 0x7c00
	s_or_b32 vcc_lo, s0, vcc_lo
	v_add_co_ci_u32_e32 v8, vcc_lo, 0, v8, vcc_lo
	s_or_b32 vcc_lo, s2, s1
	v_add_co_ci_u32_e32 v6, vcc_lo, 0, v6, vcc_lo
	v_cmp_gt_i32_e32 vcc_lo, 31, v7
	v_cndmask_b32_e32 v8, 0x7c00, v8, vcc_lo
	v_cmp_gt_i32_e32 vcc_lo, 31, v9
	v_cndmask_b32_e32 v6, 0x7c00, v6, vcc_lo
	v_cmp_eq_u32_e32 vcc_lo, 0x40f, v7
	v_cndmask_b32_e32 v2, v8, v2, vcc_lo
	v_cmp_eq_u32_e32 vcc_lo, 0x40f, v9
	v_and_or_b32 v3, 0x8000, v3, v2
	v_cndmask_b32_e32 v4, v6, v4, vcc_lo
                                        ; kill: def $vgpr2 killed $sgpr0 killed $exec
	v_mad_u64_u32 v[1:2], null, 0x2d4, s9, v[1:2]
	v_and_b32_e32 v3, 0xffff, v3
	v_and_or_b32 v2, 0x8000, v5, v4
	v_lshl_or_b32 v2, v2, 16, v3
	global_store_dword v[0:1], v2, off
.LBB0_15:
	s_endpgm
	.section	.rodata,"a",@progbits
	.p2align	6, 0x0
	.amdhsa_kernel bluestein_single_back_len182_dim1_half_op_CI_CI
		.amdhsa_group_segment_fixed_size 2912
		.amdhsa_private_segment_fixed_size 0
		.amdhsa_kernarg_size 104
		.amdhsa_user_sgpr_count 6
		.amdhsa_user_sgpr_private_segment_buffer 1
		.amdhsa_user_sgpr_dispatch_ptr 0
		.amdhsa_user_sgpr_queue_ptr 0
		.amdhsa_user_sgpr_kernarg_segment_ptr 1
		.amdhsa_user_sgpr_dispatch_id 0
		.amdhsa_user_sgpr_flat_scratch_init 0
		.amdhsa_user_sgpr_private_segment_size 0
		.amdhsa_wavefront_size32 1
		.amdhsa_uses_dynamic_stack 0
		.amdhsa_system_sgpr_private_segment_wavefront_offset 0
		.amdhsa_system_sgpr_workgroup_id_x 1
		.amdhsa_system_sgpr_workgroup_id_y 0
		.amdhsa_system_sgpr_workgroup_id_z 0
		.amdhsa_system_sgpr_workgroup_info 0
		.amdhsa_system_vgpr_workitem_id 0
		.amdhsa_next_free_vgpr 165
		.amdhsa_next_free_sgpr 16
		.amdhsa_reserve_vcc 1
		.amdhsa_reserve_flat_scratch 0
		.amdhsa_float_round_mode_32 0
		.amdhsa_float_round_mode_16_64 0
		.amdhsa_float_denorm_mode_32 3
		.amdhsa_float_denorm_mode_16_64 3
		.amdhsa_dx10_clamp 1
		.amdhsa_ieee_mode 1
		.amdhsa_fp16_overflow 0
		.amdhsa_workgroup_processor_mode 1
		.amdhsa_memory_ordered 1
		.amdhsa_forward_progress 0
		.amdhsa_shared_vgpr_count 0
		.amdhsa_exception_fp_ieee_invalid_op 0
		.amdhsa_exception_fp_denorm_src 0
		.amdhsa_exception_fp_ieee_div_zero 0
		.amdhsa_exception_fp_ieee_overflow 0
		.amdhsa_exception_fp_ieee_underflow 0
		.amdhsa_exception_fp_ieee_inexact 0
		.amdhsa_exception_int_div_zero 0
	.end_amdhsa_kernel
	.text
.Lfunc_end0:
	.size	bluestein_single_back_len182_dim1_half_op_CI_CI, .Lfunc_end0-bluestein_single_back_len182_dim1_half_op_CI_CI
                                        ; -- End function
	.section	.AMDGPU.csdata,"",@progbits
; Kernel info:
; codeLenInByte = 37356
; NumSgprs: 18
; NumVgprs: 165
; ScratchSize: 0
; MemoryBound: 0
; FloatMode: 240
; IeeeMode: 1
; LDSByteSize: 2912 bytes/workgroup (compile time only)
; SGPRBlocks: 2
; VGPRBlocks: 20
; NumSGPRsForWavesPerEU: 18
; NumVGPRsForWavesPerEU: 165
; Occupancy: 5
; WaveLimiterHint : 1
; COMPUTE_PGM_RSRC2:SCRATCH_EN: 0
; COMPUTE_PGM_RSRC2:USER_SGPR: 6
; COMPUTE_PGM_RSRC2:TRAP_HANDLER: 0
; COMPUTE_PGM_RSRC2:TGID_X_EN: 1
; COMPUTE_PGM_RSRC2:TGID_Y_EN: 0
; COMPUTE_PGM_RSRC2:TGID_Z_EN: 0
; COMPUTE_PGM_RSRC2:TIDIG_COMP_CNT: 0
	.text
	.p2alignl 6, 3214868480
	.fill 48, 4, 3214868480
	.type	__hip_cuid_633d02fa801e9265,@object ; @__hip_cuid_633d02fa801e9265
	.section	.bss,"aw",@nobits
	.globl	__hip_cuid_633d02fa801e9265
__hip_cuid_633d02fa801e9265:
	.byte	0                               ; 0x0
	.size	__hip_cuid_633d02fa801e9265, 1

	.ident	"AMD clang version 19.0.0git (https://github.com/RadeonOpenCompute/llvm-project roc-6.4.0 25133 c7fe45cf4b819c5991fe208aaa96edf142730f1d)"
	.section	".note.GNU-stack","",@progbits
	.addrsig
	.addrsig_sym __hip_cuid_633d02fa801e9265
	.amdgpu_metadata
---
amdhsa.kernels:
  - .args:
      - .actual_access:  read_only
        .address_space:  global
        .offset:         0
        .size:           8
        .value_kind:     global_buffer
      - .actual_access:  read_only
        .address_space:  global
        .offset:         8
        .size:           8
        .value_kind:     global_buffer
      - .actual_access:  read_only
        .address_space:  global
        .offset:         16
        .size:           8
        .value_kind:     global_buffer
      - .actual_access:  read_only
        .address_space:  global
        .offset:         24
        .size:           8
        .value_kind:     global_buffer
      - .actual_access:  read_only
        .address_space:  global
        .offset:         32
        .size:           8
        .value_kind:     global_buffer
      - .offset:         40
        .size:           8
        .value_kind:     by_value
      - .address_space:  global
        .offset:         48
        .size:           8
        .value_kind:     global_buffer
      - .address_space:  global
        .offset:         56
        .size:           8
        .value_kind:     global_buffer
      - .address_space:  global
        .offset:         64
        .size:           8
        .value_kind:     global_buffer
      - .address_space:  global
        .offset:         72
        .size:           8
        .value_kind:     global_buffer
      - .offset:         80
        .size:           4
        .value_kind:     by_value
      - .address_space:  global
        .offset:         88
        .size:           8
        .value_kind:     global_buffer
      - .address_space:  global
        .offset:         96
        .size:           8
        .value_kind:     global_buffer
    .group_segment_fixed_size: 2912
    .kernarg_segment_align: 8
    .kernarg_segment_size: 104
    .language:       OpenCL C
    .language_version:
      - 2
      - 0
    .max_flat_workgroup_size: 52
    .name:           bluestein_single_back_len182_dim1_half_op_CI_CI
    .private_segment_fixed_size: 0
    .sgpr_count:     18
    .sgpr_spill_count: 0
    .symbol:         bluestein_single_back_len182_dim1_half_op_CI_CI.kd
    .uniform_work_group_size: 1
    .uses_dynamic_stack: false
    .vgpr_count:     165
    .vgpr_spill_count: 0
    .wavefront_size: 32
    .workgroup_processor_mode: 1
amdhsa.target:   amdgcn-amd-amdhsa--gfx1030
amdhsa.version:
  - 1
  - 2
...

	.end_amdgpu_metadata
